;; amdgpu-corpus repo=ROCm/rocFFT kind=compiled arch=gfx1201 opt=O3
	.text
	.amdgcn_target "amdgcn-amd-amdhsa--gfx1201"
	.amdhsa_code_object_version 6
	.protected	fft_rtc_back_len2560_factors_4_4_4_10_4_wgs_128_tpt_128_halfLds_sp_op_CI_CI_sbrr_dirReg ; -- Begin function fft_rtc_back_len2560_factors_4_4_4_10_4_wgs_128_tpt_128_halfLds_sp_op_CI_CI_sbrr_dirReg
	.globl	fft_rtc_back_len2560_factors_4_4_4_10_4_wgs_128_tpt_128_halfLds_sp_op_CI_CI_sbrr_dirReg
	.p2align	8
	.type	fft_rtc_back_len2560_factors_4_4_4_10_4_wgs_128_tpt_128_halfLds_sp_op_CI_CI_sbrr_dirReg,@function
fft_rtc_back_len2560_factors_4_4_4_10_4_wgs_128_tpt_128_halfLds_sp_op_CI_CI_sbrr_dirReg: ; @fft_rtc_back_len2560_factors_4_4_4_10_4_wgs_128_tpt_128_halfLds_sp_op_CI_CI_sbrr_dirReg
; %bb.0:
	s_clause 0x2
	s_load_b128 s[12:15], s[0:1], 0x18
	s_load_b128 s[8:11], s[0:1], 0x0
	;; [unrolled: 1-line block ×3, first 2 shown]
	v_mov_b32_e32 v3, 0
	v_mov_b32_e32 v1, 0
	v_dual_mov_b32 v2, 0 :: v_dual_mov_b32 v5, ttmp9
	s_mov_b32 s3, 0
	s_delay_alu instid0(VALU_DEP_3) | instskip(SKIP_4) | instid1(VALU_DEP_1)
	v_mov_b32_e32 v6, v3
	s_wait_kmcnt 0x0
	s_load_b64 s[18:19], s[12:13], 0x0
	s_load_b64 s[16:17], s[14:15], 0x0
	v_cmp_lt_u64_e64 s2, s[10:11], 2
	s_and_b32 vcc_lo, exec_lo, s2
	s_cbranch_vccnz .LBB0_8
; %bb.1:
	s_load_b64 s[24:25], s[0:1], 0x10
	v_mov_b32_e32 v1, 0
	v_mov_b32_e32 v2, 0
	s_add_nc_u64 s[20:21], s[14:15], 8
	s_add_nc_u64 s[22:23], s[12:13], 8
	s_mov_b64 s[26:27], 1
	s_delay_alu instid0(VALU_DEP_1)
	v_dual_mov_b32 v22, v2 :: v_dual_mov_b32 v21, v1
	s_wait_kmcnt 0x0
	s_add_nc_u64 s[24:25], s[24:25], 8
.LBB0_2:                                ; =>This Inner Loop Header: Depth=1
	s_load_b64 s[28:29], s[24:25], 0x0
                                        ; implicit-def: $vgpr23_vgpr24
	s_mov_b32 s2, exec_lo
	s_wait_kmcnt 0x0
	v_or_b32_e32 v4, s29, v6
	s_delay_alu instid0(VALU_DEP_1)
	v_cmpx_ne_u64_e32 0, v[3:4]
	s_wait_alu 0xfffe
	s_xor_b32 s30, exec_lo, s2
	s_cbranch_execz .LBB0_4
; %bb.3:                                ;   in Loop: Header=BB0_2 Depth=1
	s_cvt_f32_u32 s2, s28
	s_cvt_f32_u32 s31, s29
	s_sub_nc_u64 s[36:37], 0, s[28:29]
	s_wait_alu 0xfffe
	s_delay_alu instid0(SALU_CYCLE_1) | instskip(SKIP_1) | instid1(SALU_CYCLE_2)
	s_fmamk_f32 s2, s31, 0x4f800000, s2
	s_wait_alu 0xfffe
	v_s_rcp_f32 s2, s2
	s_delay_alu instid0(TRANS32_DEP_1) | instskip(SKIP_1) | instid1(SALU_CYCLE_2)
	s_mul_f32 s2, s2, 0x5f7ffffc
	s_wait_alu 0xfffe
	s_mul_f32 s31, s2, 0x2f800000
	s_wait_alu 0xfffe
	s_delay_alu instid0(SALU_CYCLE_2) | instskip(SKIP_1) | instid1(SALU_CYCLE_2)
	s_trunc_f32 s31, s31
	s_wait_alu 0xfffe
	s_fmamk_f32 s2, s31, 0xcf800000, s2
	s_cvt_u32_f32 s35, s31
	s_wait_alu 0xfffe
	s_delay_alu instid0(SALU_CYCLE_1) | instskip(SKIP_1) | instid1(SALU_CYCLE_2)
	s_cvt_u32_f32 s34, s2
	s_wait_alu 0xfffe
	s_mul_u64 s[38:39], s[36:37], s[34:35]
	s_wait_alu 0xfffe
	s_mul_hi_u32 s41, s34, s39
	s_mul_i32 s40, s34, s39
	s_mul_hi_u32 s2, s34, s38
	s_mul_i32 s33, s35, s38
	s_wait_alu 0xfffe
	s_add_nc_u64 s[40:41], s[2:3], s[40:41]
	s_mul_hi_u32 s31, s35, s38
	s_mul_hi_u32 s42, s35, s39
	s_add_co_u32 s2, s40, s33
	s_wait_alu 0xfffe
	s_add_co_ci_u32 s2, s41, s31
	s_mul_i32 s38, s35, s39
	s_add_co_ci_u32 s39, s42, 0
	s_wait_alu 0xfffe
	s_add_nc_u64 s[38:39], s[2:3], s[38:39]
	s_wait_alu 0xfffe
	v_add_co_u32 v4, s2, s34, s38
	s_delay_alu instid0(VALU_DEP_1) | instskip(SKIP_1) | instid1(VALU_DEP_1)
	s_cmp_lg_u32 s2, 0
	s_add_co_ci_u32 s35, s35, s39
	v_readfirstlane_b32 s34, v4
	s_wait_alu 0xfffe
	s_delay_alu instid0(VALU_DEP_1)
	s_mul_u64 s[36:37], s[36:37], s[34:35]
	s_wait_alu 0xfffe
	s_mul_hi_u32 s39, s34, s37
	s_mul_i32 s38, s34, s37
	s_mul_hi_u32 s2, s34, s36
	s_mul_i32 s33, s35, s36
	s_wait_alu 0xfffe
	s_add_nc_u64 s[38:39], s[2:3], s[38:39]
	s_mul_hi_u32 s31, s35, s36
	s_mul_hi_u32 s34, s35, s37
	s_wait_alu 0xfffe
	s_add_co_u32 s2, s38, s33
	s_add_co_ci_u32 s2, s39, s31
	s_mul_i32 s36, s35, s37
	s_add_co_ci_u32 s37, s34, 0
	s_wait_alu 0xfffe
	s_add_nc_u64 s[36:37], s[2:3], s[36:37]
	s_wait_alu 0xfffe
	v_add_co_u32 v4, s2, v4, s36
	s_delay_alu instid0(VALU_DEP_1) | instskip(SKIP_1) | instid1(VALU_DEP_1)
	s_cmp_lg_u32 s2, 0
	s_add_co_ci_u32 s2, s35, s37
	v_mul_hi_u32 v13, v5, v4
	s_wait_alu 0xfffe
	v_mad_co_u64_u32 v[7:8], null, v5, s2, 0
	v_mad_co_u64_u32 v[9:10], null, v6, v4, 0
	;; [unrolled: 1-line block ×3, first 2 shown]
	s_delay_alu instid0(VALU_DEP_3) | instskip(SKIP_1) | instid1(VALU_DEP_4)
	v_add_co_u32 v4, vcc_lo, v13, v7
	s_wait_alu 0xfffd
	v_add_co_ci_u32_e32 v7, vcc_lo, 0, v8, vcc_lo
	s_delay_alu instid0(VALU_DEP_2) | instskip(SKIP_1) | instid1(VALU_DEP_2)
	v_add_co_u32 v4, vcc_lo, v4, v9
	s_wait_alu 0xfffd
	v_add_co_ci_u32_e32 v4, vcc_lo, v7, v10, vcc_lo
	s_wait_alu 0xfffd
	v_add_co_ci_u32_e32 v7, vcc_lo, 0, v12, vcc_lo
	s_delay_alu instid0(VALU_DEP_2) | instskip(SKIP_1) | instid1(VALU_DEP_2)
	v_add_co_u32 v4, vcc_lo, v4, v11
	s_wait_alu 0xfffd
	v_add_co_ci_u32_e32 v9, vcc_lo, 0, v7, vcc_lo
	s_delay_alu instid0(VALU_DEP_2) | instskip(SKIP_1) | instid1(VALU_DEP_3)
	v_mul_lo_u32 v10, s29, v4
	v_mad_co_u64_u32 v[7:8], null, s28, v4, 0
	v_mul_lo_u32 v11, s28, v9
	s_delay_alu instid0(VALU_DEP_2) | instskip(NEXT) | instid1(VALU_DEP_2)
	v_sub_co_u32 v7, vcc_lo, v5, v7
	v_add3_u32 v8, v8, v11, v10
	s_delay_alu instid0(VALU_DEP_1) | instskip(SKIP_1) | instid1(VALU_DEP_1)
	v_sub_nc_u32_e32 v10, v6, v8
	s_wait_alu 0xfffd
	v_subrev_co_ci_u32_e64 v10, s2, s29, v10, vcc_lo
	v_add_co_u32 v11, s2, v4, 2
	s_wait_alu 0xf1ff
	v_add_co_ci_u32_e64 v12, s2, 0, v9, s2
	v_sub_co_u32 v13, s2, v7, s28
	v_sub_co_ci_u32_e32 v8, vcc_lo, v6, v8, vcc_lo
	s_wait_alu 0xf1ff
	v_subrev_co_ci_u32_e64 v10, s2, 0, v10, s2
	s_delay_alu instid0(VALU_DEP_3) | instskip(NEXT) | instid1(VALU_DEP_3)
	v_cmp_le_u32_e32 vcc_lo, s28, v13
	v_cmp_eq_u32_e64 s2, s29, v8
	s_wait_alu 0xfffd
	v_cndmask_b32_e64 v13, 0, -1, vcc_lo
	v_cmp_le_u32_e32 vcc_lo, s29, v10
	s_wait_alu 0xfffd
	v_cndmask_b32_e64 v14, 0, -1, vcc_lo
	v_cmp_le_u32_e32 vcc_lo, s28, v7
	;; [unrolled: 3-line block ×3, first 2 shown]
	s_wait_alu 0xfffd
	v_cndmask_b32_e64 v15, 0, -1, vcc_lo
	v_cmp_eq_u32_e32 vcc_lo, s29, v10
	s_wait_alu 0xf1ff
	s_delay_alu instid0(VALU_DEP_2)
	v_cndmask_b32_e64 v7, v15, v7, s2
	s_wait_alu 0xfffd
	v_cndmask_b32_e32 v10, v14, v13, vcc_lo
	v_add_co_u32 v13, vcc_lo, v4, 1
	s_wait_alu 0xfffd
	v_add_co_ci_u32_e32 v14, vcc_lo, 0, v9, vcc_lo
	s_delay_alu instid0(VALU_DEP_3) | instskip(SKIP_2) | instid1(VALU_DEP_3)
	v_cmp_ne_u32_e32 vcc_lo, 0, v10
	s_wait_alu 0xfffd
	v_cndmask_b32_e32 v10, v13, v11, vcc_lo
	v_cndmask_b32_e32 v8, v14, v12, vcc_lo
	v_cmp_ne_u32_e32 vcc_lo, 0, v7
	s_wait_alu 0xfffd
	s_delay_alu instid0(VALU_DEP_2)
	v_dual_cndmask_b32 v23, v4, v10 :: v_dual_cndmask_b32 v24, v9, v8
.LBB0_4:                                ;   in Loop: Header=BB0_2 Depth=1
	s_wait_alu 0xfffe
	s_and_not1_saveexec_b32 s2, s30
	s_cbranch_execz .LBB0_6
; %bb.5:                                ;   in Loop: Header=BB0_2 Depth=1
	v_cvt_f32_u32_e32 v4, s28
	s_sub_co_i32 s30, 0, s28
	v_mov_b32_e32 v24, v3
	s_delay_alu instid0(VALU_DEP_2) | instskip(NEXT) | instid1(TRANS32_DEP_1)
	v_rcp_iflag_f32_e32 v4, v4
	v_mul_f32_e32 v4, 0x4f7ffffe, v4
	s_delay_alu instid0(VALU_DEP_1) | instskip(SKIP_1) | instid1(VALU_DEP_1)
	v_cvt_u32_f32_e32 v4, v4
	s_wait_alu 0xfffe
	v_mul_lo_u32 v7, s30, v4
	s_delay_alu instid0(VALU_DEP_1) | instskip(NEXT) | instid1(VALU_DEP_1)
	v_mul_hi_u32 v7, v4, v7
	v_add_nc_u32_e32 v4, v4, v7
	s_delay_alu instid0(VALU_DEP_1) | instskip(NEXT) | instid1(VALU_DEP_1)
	v_mul_hi_u32 v4, v5, v4
	v_mul_lo_u32 v7, v4, s28
	v_add_nc_u32_e32 v8, 1, v4
	s_delay_alu instid0(VALU_DEP_2) | instskip(NEXT) | instid1(VALU_DEP_1)
	v_sub_nc_u32_e32 v7, v5, v7
	v_subrev_nc_u32_e32 v9, s28, v7
	v_cmp_le_u32_e32 vcc_lo, s28, v7
	s_wait_alu 0xfffd
	s_delay_alu instid0(VALU_DEP_2) | instskip(NEXT) | instid1(VALU_DEP_1)
	v_dual_cndmask_b32 v7, v7, v9 :: v_dual_cndmask_b32 v4, v4, v8
	v_cmp_le_u32_e32 vcc_lo, s28, v7
	s_delay_alu instid0(VALU_DEP_2) | instskip(SKIP_1) | instid1(VALU_DEP_1)
	v_add_nc_u32_e32 v8, 1, v4
	s_wait_alu 0xfffd
	v_cndmask_b32_e32 v23, v4, v8, vcc_lo
.LBB0_6:                                ;   in Loop: Header=BB0_2 Depth=1
	s_wait_alu 0xfffe
	s_or_b32 exec_lo, exec_lo, s2
	v_mul_lo_u32 v4, v24, s28
	s_delay_alu instid0(VALU_DEP_2)
	v_mul_lo_u32 v9, v23, s29
	s_load_b64 s[30:31], s[22:23], 0x0
	v_mad_co_u64_u32 v[7:8], null, v23, s28, 0
	s_load_b64 s[28:29], s[20:21], 0x0
	s_add_nc_u64 s[26:27], s[26:27], 1
	s_add_nc_u64 s[20:21], s[20:21], 8
	s_wait_alu 0xfffe
	v_cmp_ge_u64_e64 s2, s[26:27], s[10:11]
	s_add_nc_u64 s[22:23], s[22:23], 8
	s_add_nc_u64 s[24:25], s[24:25], 8
	v_add3_u32 v4, v8, v9, v4
	v_sub_co_u32 v5, vcc_lo, v5, v7
	s_wait_alu 0xfffd
	s_delay_alu instid0(VALU_DEP_2) | instskip(SKIP_2) | instid1(VALU_DEP_1)
	v_sub_co_ci_u32_e32 v4, vcc_lo, v6, v4, vcc_lo
	s_and_b32 vcc_lo, exec_lo, s2
	s_wait_kmcnt 0x0
	v_mul_lo_u32 v6, s30, v4
	v_mul_lo_u32 v7, s31, v5
	v_mad_co_u64_u32 v[1:2], null, s30, v5, v[1:2]
	v_mul_lo_u32 v4, s28, v4
	v_mul_lo_u32 v8, s29, v5
	v_mad_co_u64_u32 v[21:22], null, s28, v5, v[21:22]
	s_delay_alu instid0(VALU_DEP_4) | instskip(NEXT) | instid1(VALU_DEP_2)
	v_add3_u32 v2, v7, v2, v6
	v_add3_u32 v22, v8, v22, v4
	s_wait_alu 0xfffe
	s_cbranch_vccnz .LBB0_9
; %bb.7:                                ;   in Loop: Header=BB0_2 Depth=1
	v_dual_mov_b32 v5, v23 :: v_dual_mov_b32 v6, v24
	s_branch .LBB0_2
.LBB0_8:
	v_dual_mov_b32 v22, v2 :: v_dual_mov_b32 v21, v1
	v_dual_mov_b32 v24, v6 :: v_dual_mov_b32 v23, v5
.LBB0_9:
	s_load_b64 s[0:1], s[0:1], 0x28
	v_or_b32_e32 v47, 0x80, v0
	v_or_b32_e32 v48, 0x100, v0
	;; [unrolled: 1-line block ×4, first 2 shown]
	s_lshl_b64 s[10:11], s[10:11], 3
                                        ; implicit-def: $sgpr2_sgpr3
	s_wait_kmcnt 0x0
	v_cmp_gt_u64_e32 vcc_lo, s[0:1], v[23:24]
	v_cmp_le_u64_e64 s0, s[0:1], v[23:24]
	s_delay_alu instid0(VALU_DEP_1)
	s_and_saveexec_b32 s1, s0
	s_wait_alu 0xfffe
	s_xor_b32 s0, exec_lo, s1
; %bb.10:
	v_or_b32_e32 v47, 0x80, v0
	v_or_b32_e32 v48, 0x100, v0
	;; [unrolled: 1-line block ×4, first 2 shown]
	s_mov_b64 s[2:3], 0
                                        ; implicit-def: $vgpr1_vgpr2
; %bb.11:
	s_wait_alu 0xfffe
	s_or_saveexec_b32 s1, s0
	v_dual_mov_b32 v4, s3 :: v_dual_mov_b32 v3, s2
	v_dual_mov_b32 v6, s3 :: v_dual_mov_b32 v5, s2
	;; [unrolled: 1-line block ×10, first 2 shown]
	s_add_nc_u64 s[2:3], s[14:15], s[10:11]
                                        ; implicit-def: $vgpr8
                                        ; implicit-def: $vgpr16
                                        ; implicit-def: $vgpr28
                                        ; implicit-def: $vgpr44
                                        ; implicit-def: $vgpr40
                                        ; implicit-def: $vgpr42
                                        ; implicit-def: $vgpr46
                                        ; implicit-def: $vgpr30
                                        ; implicit-def: $vgpr18
                                        ; implicit-def: $vgpr10
	s_wait_alu 0xfffe
	s_xor_b32 exec_lo, exec_lo, s1
	s_cbranch_execz .LBB0_13
; %bb.12:
	s_add_nc_u64 s[10:11], s[12:13], s[10:11]
	v_or_b32_e32 v16, 0x280, v0
	s_load_b64 s[10:11], s[10:11], 0x0
	v_or_b32_e32 v18, 0x500, v0
	v_mad_co_u64_u32 v[3:4], null, s18, v0, 0
	s_delay_alu instid0(VALU_DEP_3) | instskip(SKIP_1) | instid1(VALU_DEP_4)
	v_mad_co_u64_u32 v[5:6], null, s18, v16, 0
	v_or_b32_e32 v19, 0x780, v0
	v_mad_co_u64_u32 v[7:8], null, s18, v18, 0
	v_lshlrev_b64_e32 v[1:2], 3, v[1:2]
	v_or_b32_e32 v27, 0x800, v0
	s_delay_alu instid0(VALU_DEP_4)
	v_mad_co_u64_u32 v[9:10], null, s18, v19, 0
	v_mad_co_u64_u32 v[13:14], null, s19, v0, v[4:5]
	;; [unrolled: 1-line block ×3, first 2 shown]
	v_mov_b32_e32 v4, v6
	v_mov_b32_e32 v6, v8
	;; [unrolled: 1-line block ×3, first 2 shown]
	s_wait_kmcnt 0x0
	v_mul_lo_u32 v17, s11, v23
	v_mul_lo_u32 v20, s10, v24
	v_mad_co_u64_u32 v[11:12], null, s10, v23, 0
	v_mad_co_u64_u32 v[25:26], null, s18, v27, 0
	v_or_b32_e32 v33, 0x380, v0
	v_or_b32_e32 v35, 0x600, v0
	v_or_b32_e32 v54, 0x980, v0
	v_or_b32_e32 v36, 0x880, v0
	v_add3_u32 v12, v12, v20, v17
	v_mad_co_u64_u32 v[16:17], null, s19, v16, v[4:5]
	v_mad_co_u64_u32 v[17:18], null, s19, v18, v[6:7]
	s_delay_alu instid0(VALU_DEP_3)
	v_lshlrev_b64_e32 v[10:11], 3, v[11:12]
	v_mov_b32_e32 v4, v13
	v_mad_co_u64_u32 v[12:13], null, s19, v19, v[8:9]
	v_mov_b32_e32 v6, v16
	v_or_b32_e32 v13, 0x300, v0
	v_add_co_u32 v10, s0, s4, v10
	s_wait_alu 0xf1ff
	v_add_co_ci_u32_e64 v11, s0, s5, v11, s0
	v_lshlrev_b64_e32 v[3:4], 3, v[3:4]
	v_mov_b32_e32 v8, v17
	v_add_co_u32 v55, s0, v10, v1
	s_wait_alu 0xf1ff
	v_add_co_ci_u32_e64 v56, s0, v11, v2, s0
	v_lshlrev_b64_e32 v[1:2], 3, v[5:6]
	s_delay_alu instid0(VALU_DEP_3) | instskip(SKIP_3) | instid1(VALU_DEP_4)
	v_add_co_u32 v3, s0, v55, v3
	v_lshlrev_b64_e32 v[5:6], 3, v[7:8]
	s_wait_alu 0xf1ff
	v_add_co_ci_u32_e64 v4, s0, v56, v4, s0
	v_add_co_u32 v1, s0, v55, v1
	v_mov_b32_e32 v10, v12
	s_wait_alu 0xf1ff
	v_add_co_ci_u32_e64 v2, s0, v56, v2, s0
	v_mad_co_u64_u32 v[11:12], null, s18, v13, 0
	v_add_co_u32 v16, s0, v55, v5
	v_mov_b32_e32 v7, v15
	v_or_b32_e32 v20, 0x580, v0
	s_wait_alu 0xf1ff
	v_add_co_ci_u32_e64 v17, s0, v56, v6, s0
	v_lshlrev_b64_e32 v[5:6], 3, v[9:10]
	v_mad_co_u64_u32 v[7:8], null, s19, v47, v[7:8]
	v_mad_co_u64_u32 v[18:19], null, s18, v20, 0
	v_mov_b32_e32 v8, v12
	s_delay_alu instid0(VALU_DEP_4) | instskip(SKIP_3) | instid1(VALU_DEP_3)
	v_add_co_u32 v9, s0, v55, v5
	s_wait_alu 0xf1ff
	v_add_co_ci_u32_e64 v10, s0, v56, v6, s0
	v_mov_b32_e32 v15, v7
	v_mad_co_u64_u32 v[12:13], null, s19, v13, v[8:9]
	v_mov_b32_e32 v13, v19
	s_clause 0x3
	global_load_b64 v[3:4], v[3:4], off
	global_load_b64 v[5:6], v[1:2], off
	global_load_b64 v[7:8], v[16:17], off
	global_load_b64 v[9:10], v[9:10], off
	v_lshlrev_b64_e32 v[1:2], 3, v[14:15]
	v_mad_co_u64_u32 v[29:30], null, s18, v35, 0
	v_mad_co_u64_u32 v[13:14], null, s19, v20, v[13:14]
	v_mov_b32_e32 v14, v26
	v_lshlrev_b64_e32 v[11:12], 3, v[11:12]
	v_add_co_u32 v1, s0, v55, v1
	s_wait_alu 0xf1ff
	v_add_co_ci_u32_e64 v2, s0, v56, v2, s0
	v_mov_b32_e32 v19, v13
	v_mad_co_u64_u32 v[13:14], null, s19, v27, v[14:15]
	v_mad_co_u64_u32 v[27:28], null, s18, v48, 0
	v_add_co_u32 v14, s0, v55, v11
	s_wait_alu 0xf1ff
	v_add_co_ci_u32_e64 v15, s0, v56, v12, s0
	v_lshlrev_b64_e32 v[11:12], 3, v[18:19]
	s_delay_alu instid0(VALU_DEP_4) | instskip(SKIP_2) | instid1(VALU_DEP_4)
	v_dual_mov_b32 v26, v13 :: v_dual_mov_b32 v13, v28
	v_mad_co_u64_u32 v[19:20], null, s18, v33, 0
	v_mad_co_u64_u32 v[51:52], null, s18, v54, 0
	v_add_co_u32 v16, s0, v55, v11
	s_wait_alu 0xf1ff
	v_add_co_ci_u32_e64 v17, s0, v56, v12, s0
	v_lshlrev_b64_e32 v[11:12], 3, v[25:26]
	v_mad_co_u64_u32 v[25:26], null, s19, v48, v[13:14]
	v_dual_mov_b32 v13, v20 :: v_dual_mov_b32 v20, v30
	v_or_b32_e32 v38, 0x400, v0
	s_delay_alu instid0(VALU_DEP_4)
	v_add_co_u32 v31, s0, v55, v11
	s_wait_alu 0xf1ff
	v_add_co_ci_u32_e64 v32, s0, v56, v12, s0
	v_mov_b32_e32 v28, v25
	v_mad_co_u64_u32 v[25:26], null, s19, v33, v[13:14]
	v_mad_co_u64_u32 v[33:34], null, s18, v36, 0
	s_clause 0x3
	global_load_b64 v[11:12], v[1:2], off
	global_load_b64 v[13:14], v[14:15], off
	;; [unrolled: 1-line block ×4, first 2 shown]
	v_lshlrev_b64_e32 v[1:2], 3, v[27:28]
	v_mad_co_u64_u32 v[26:27], null, s19, v35, v[20:21]
	v_mov_b32_e32 v20, v25
	v_mad_co_u64_u32 v[31:32], null, s18, v49, 0
	v_mov_b32_e32 v25, v34
	v_add_co_u32 v1, s0, v55, v1
	s_delay_alu instid0(VALU_DEP_4) | instskip(SKIP_1) | instid1(VALU_DEP_4)
	v_lshlrev_b64_e32 v[19:20], 3, v[19:20]
	v_mov_b32_e32 v30, v26
	v_mad_co_u64_u32 v[25:26], null, s19, v36, v[25:26]
	s_wait_alu 0xf1ff
	v_add_co_ci_u32_e64 v2, s0, v56, v2, s0
	s_delay_alu instid0(VALU_DEP_4)
	v_add_co_u32 v26, s0, v55, v19
	s_wait_alu 0xf1ff
	v_add_co_ci_u32_e64 v27, s0, v56, v20, s0
	v_lshlrev_b64_e32 v[19:20], 3, v[29:30]
	v_dual_mov_b32 v34, v25 :: v_dual_mov_b32 v25, v32
	v_mad_co_u64_u32 v[35:36], null, s18, v38, 0
	v_or_b32_e32 v40, 0x680, v0
	s_delay_alu instid0(VALU_DEP_4)
	v_add_co_u32 v28, s0, v55, v19
	s_wait_alu 0xf1ff
	v_add_co_ci_u32_e64 v29, s0, v56, v20, s0
	v_lshlrev_b64_e32 v[19:20], 3, v[33:34]
	v_mad_co_u64_u32 v[32:33], null, s19, v49, v[25:26]
	v_mad_co_u64_u32 v[33:34], null, s18, v40, 0
	v_mov_b32_e32 v25, v36
	v_or_b32_e32 v41, 0x900, v0
	v_add_co_u32 v36, s0, v55, v19
	s_wait_alu 0xf1ff
	v_add_co_ci_u32_e64 v37, s0, v56, v20, s0
	v_mad_co_u64_u32 v[38:39], null, s19, v38, v[25:26]
	s_clause 0x3
	global_load_b64 v[19:20], v[1:2], off
	global_load_b64 v[25:26], v[26:27], off
	;; [unrolled: 1-line block ×4, first 2 shown]
	v_lshlrev_b64_e32 v[1:2], 3, v[31:32]
	v_mad_co_u64_u32 v[31:32], null, s19, v40, v[34:35]
	v_mad_co_u64_u32 v[39:40], null, s18, v41, 0
	v_mov_b32_e32 v36, v38
	v_mad_co_u64_u32 v[37:38], null, s18, v50, 0
	v_or_b32_e32 v45, 0x480, v0
	v_mov_b32_e32 v34, v31
	s_delay_alu instid0(VALU_DEP_4) | instskip(SKIP_2) | instid1(VALU_DEP_4)
	v_lshlrev_b64_e32 v[35:36], 3, v[35:36]
	v_mov_b32_e32 v31, v40
	v_add_co_u32 v1, s0, v55, v1
	v_lshlrev_b64_e32 v[33:34], 3, v[33:34]
	v_or_b32_e32 v53, 0x700, v0
	s_delay_alu instid0(VALU_DEP_4)
	v_mad_co_u64_u32 v[31:32], null, s19, v41, v[31:32]
	v_mad_co_u64_u32 v[41:42], null, s18, v45, 0
	v_mov_b32_e32 v32, v38
	s_wait_alu 0xf1ff
	v_add_co_ci_u32_e64 v2, s0, v56, v2, s0
	v_add_co_u32 v43, s0, v55, v35
	v_mov_b32_e32 v40, v31
	v_mad_co_u64_u32 v[31:32], null, s19, v50, v[32:33]
	s_wait_alu 0xf1ff
	v_add_co_ci_u32_e64 v44, s0, v56, v36, s0
	v_mov_b32_e32 v32, v42
	v_mad_co_u64_u32 v[35:36], null, s18, v53, 0
	v_lshlrev_b64_e32 v[39:40], 3, v[39:40]
	v_dual_mov_b32 v38, v31 :: v_dual_mov_b32 v31, v52
	s_delay_alu instid0(VALU_DEP_4)
	v_mad_co_u64_u32 v[45:46], null, s19, v45, v[32:33]
	v_add_co_u32 v32, s0, v55, v33
	s_wait_alu 0xf1ff
	v_add_co_ci_u32_e64 v33, s0, v56, v34, s0
	v_mov_b32_e32 v34, v36
	v_lshlrev_b64_e32 v[37:38], 3, v[37:38]
	v_mov_b32_e32 v42, v45
	v_add_co_u32 v39, s0, v55, v39
	s_delay_alu instid0(VALU_DEP_4) | instskip(SKIP_1) | instid1(VALU_DEP_4)
	v_mad_co_u64_u32 v[45:46], null, s19, v53, v[34:35]
	v_mad_co_u64_u32 v[52:53], null, s19, v54, v[31:32]
	v_lshlrev_b64_e32 v[41:42], 3, v[41:42]
	s_wait_alu 0xf1ff
	v_add_co_ci_u32_e64 v40, s0, v56, v40, s0
	v_add_co_u32 v53, s0, v55, v37
	v_mov_b32_e32 v36, v45
	s_wait_alu 0xf1ff
	v_add_co_ci_u32_e64 v54, s0, v56, v38, s0
	v_add_co_u32 v41, s0, v55, v41
	s_delay_alu instid0(VALU_DEP_3) | instskip(SKIP_3) | instid1(VALU_DEP_3)
	v_lshlrev_b64_e32 v[34:35], 3, v[35:36]
	v_lshlrev_b64_e32 v[36:37], 3, v[51:52]
	s_wait_alu 0xf1ff
	v_add_co_ci_u32_e64 v42, s0, v56, v42, s0
	v_add_co_u32 v51, s0, v55, v34
	s_wait_alu 0xf1ff
	v_add_co_ci_u32_e64 v52, s0, v56, v35, s0
	v_add_co_u32 v55, s0, v55, v36
	s_wait_alu 0xf1ff
	v_add_co_ci_u32_e64 v56, s0, v56, v37, s0
	s_clause 0x7
	global_load_b64 v[35:36], v[1:2], off
	global_load_b64 v[37:38], v[43:44], off
	;; [unrolled: 1-line block ×8, first 2 shown]
.LBB0_13:
	s_or_b32 exec_lo, exec_lo, s1
	s_wait_loadcnt 0x11
	v_dual_sub_f32 v51, v3, v7 :: v_dual_sub_f32 v8, v4, v8
	s_wait_loadcnt 0x10
	v_dual_sub_f32 v7, v5, v9 :: v_dual_sub_f32 v2, v6, v10
	;; [unrolled: 2-line block ×3, first 2 shown]
	v_fma_f32 v9, v3, 2.0, -v51
	s_delay_alu instid0(VALU_DEP_3)
	v_fma_f32 v1, v5, 2.0, -v7
	v_sub_f32_e32 v52, v11, v15
	v_fma_f32 v10, v4, 2.0, -v8
	v_fma_f32 v3, v6, 2.0, -v2
	;; [unrolled: 1-line block ×3, first 2 shown]
	v_dual_sub_f32 v1, v9, v1 :: v_dual_sub_f32 v18, v14, v18
	v_fma_f32 v15, v11, 2.0, -v52
	s_delay_alu instid0(VALU_DEP_4) | instskip(SKIP_1) | instid1(VALU_DEP_4)
	v_dual_sub_f32 v3, v10, v3 :: v_dual_add_f32 v2, v51, v2
	v_fma_f32 v6, v13, 2.0, -v17
	v_fma_f32 v11, v14, 2.0, -v18
	;; [unrolled: 1-line block ×3, first 2 shown]
	v_sub_f32_e32 v4, v8, v7
	s_wait_loadcnt 0x9
	v_dual_sub_f32 v28, v20, v28 :: v_dual_sub_f32 v7, v15, v6
	v_sub_f32_e32 v9, v53, v11
	v_fma_f32 v6, v51, 2.0, -v2
	v_sub_f32_e32 v51, v19, v27
	s_wait_loadcnt 0x8
	v_sub_f32_e32 v27, v25, v29
	v_fma_f32 v11, v10, 2.0, -v3
	v_fma_f32 v12, v8, 2.0, -v4
	v_add_f32_e32 v8, v52, v18
	v_fma_f32 v29, v19, 2.0, -v51
	v_fma_f32 v19, v25, 2.0, -v27
	v_sub_f32_e32 v18, v26, v30
	s_wait_loadcnt 0x5
	v_dual_sub_f32 v10, v16, v17 :: v_dual_sub_f32 v43, v35, v43
	s_wait_loadcnt 0x4
	v_dual_sub_f32 v45, v37, v45 :: v_dual_sub_f32 v44, v36, v44
	v_fma_f32 v30, v20, 2.0, -v28
	v_fma_f32 v14, v52, 2.0, -v8
	v_sub_f32_e32 v17, v29, v19
	v_fma_f32 v20, v26, 2.0, -v18
	v_fma_f32 v52, v35, 2.0, -v43
	;; [unrolled: 1-line block ×3, first 2 shown]
	v_add_f32_e32 v18, v51, v18
	v_fma_f32 v36, v36, 2.0, -v44
	v_sub_f32_e32 v19, v30, v20
	v_sub_f32_e32 v46, v38, v46
	;; [unrolled: 1-line block ×4, first 2 shown]
	v_fma_f32 v26, v51, 2.0, -v18
	s_wait_loadcnt 0x1
	v_sub_f32_e32 v51, v31, v39
	v_fma_f32 v35, v38, 2.0, -v46
	v_fma_f32 v25, v29, 2.0, -v17
	;; [unrolled: 1-line block ×3, first 2 shown]
	v_sub_f32_e32 v52, v32, v40
	s_wait_loadcnt 0x0
	v_dual_sub_f32 v40, v33, v41 :: v_dual_sub_f32 v41, v34, v42
	v_fma_f32 v29, v30, 2.0, -v19
	v_fma_f32 v30, v28, 2.0, -v20
	v_sub_f32_e32 v35, v36, v35
	v_fma_f32 v42, v31, 2.0, -v51
	v_add_f32_e32 v28, v43, v46
	v_fma_f32 v46, v32, 2.0, -v52
	v_fma_f32 v32, v33, 2.0, -v40
	;; [unrolled: 1-line block ×4, first 2 shown]
	v_sub_f32_e32 v36, v44, v45
	v_lshl_add_u32 v60, v0, 4, 0
	v_sub_f32_e32 v33, v42, v32
	v_dual_sub_f32 v39, v46, v34 :: v_dual_add_f32 v34, v51, v41
	v_and_b32_e32 v61, 3, v0
	v_fma_f32 v13, v15, 2.0, -v7
	v_lshl_add_u32 v41, v47, 4, 0
	v_fma_f32 v38, v43, 2.0, -v28
	v_fma_f32 v43, v42, 2.0, -v33
	v_lshl_add_u32 v42, v48, 4, 0
	v_lshl_add_u32 v45, v49, 4, 0
	v_fma_f32 v32, v44, 2.0, -v36
	v_fma_f32 v54, v46, 2.0, -v39
	;; [unrolled: 1-line block ×3, first 2 shown]
	v_lshl_add_u32 v46, v50, 4, 0
	s_load_b64 s[0:1], s[2:3], 0x0
	ds_store_2addr_b64 v60, v[5:6], v[1:2] offset1:1
	ds_store_2addr_b64 v41, v[13:14], v[7:8] offset1:1
	;; [unrolled: 1-line block ×5, first 2 shown]
	v_mul_u32_u24_e32 v1, 3, v61
	v_sub_f32_e32 v40, v52, v40
	v_fma_f32 v15, v53, 2.0, -v9
	v_fma_f32 v16, v16, 2.0, -v10
	v_mad_i32_i24 v53, v0, -12, v60
	v_lshlrev_b32_e32 v1, 3, v1
	v_mad_i32_i24 v43, v47, -12, v41
	v_mad_i32_i24 v44, v48, -12, v42
	v_fma_f32 v55, v52, 2.0, -v40
	v_mad_i32_i24 v51, v49, -12, v45
	v_mad_i32_i24 v52, v50, -12, v46
	global_wb scope:SCOPE_SE
	s_wait_dscnt 0x0
	s_wait_kmcnt 0x0
	s_barrier_signal -1
	s_barrier_wait -1
	global_inv scope:SCOPE_SE
	ds_load_2addr_stride64_b32 v[13:14], v53 offset1:10
	ds_load_2addr_stride64_b32 v[17:18], v53 offset0:20 offset1:22
	ds_load_2addr_stride64_b32 v[25:26], v53 offset0:28 offset1:30
	;; [unrolled: 1-line block ×7, first 2 shown]
	ds_load_b32 v62, v43
	ds_load_b32 v63, v44
	;; [unrolled: 1-line block ×4, first 2 shown]
	global_wb scope:SCOPE_SE
	s_wait_dscnt 0x0
	s_barrier_signal -1
	s_barrier_wait -1
	global_inv scope:SCOPE_SE
	ds_store_2addr_b64 v60, v[11:12], v[3:4] offset1:1
	ds_store_2addr_b64 v41, v[15:16], v[9:10] offset1:1
	;; [unrolled: 1-line block ×5, first 2 shown]
	global_wb scope:SCOPE_SE
	s_wait_dscnt 0x0
	s_barrier_signal -1
	s_barrier_wait -1
	global_inv scope:SCOPE_SE
	s_clause 0x1
	global_load_b128 v[6:9], v1, s[8:9]
	global_load_b64 v[10:11], v1, s[8:9] offset:16
	v_lshlrev_b32_e32 v4, 2, v49
	v_lshlrev_b32_e32 v2, 2, v47
	;; [unrolled: 1-line block ×3, first 2 shown]
	v_and_b32_e32 v66, 15, v0
	s_delay_alu instid0(VALU_DEP_2) | instskip(NEXT) | instid1(VALU_DEP_1)
	v_and_or_b32 v19, 0x5f0, v3, v61
	v_lshl_add_u32 v69, v19, 2, 0
	ds_load_2addr_stride64_b32 v[19:20], v53 offset0:20 offset1:22
	s_wait_loadcnt 0x1
	v_mul_f32_e32 v77, v14, v7
	s_wait_loadcnt 0x0
	v_mul_f32_e32 v81, v26, v11
	v_and_or_b32 v29, 0x7f0, v4, v61
	v_mul_f32_e32 v79, v17, v9
	v_and_or_b32 v15, 0x3f0, v2, v61
	v_mul_u32_u24_e32 v35, 3, v66
	s_wait_dscnt 0x0
	v_mul_f32_e32 v78, v19, v9
	v_lshl_add_u32 v70, v29, 2, 0
	ds_load_2addr_stride64_b32 v[29:30], v53 offset0:28 offset1:30
	v_lshl_add_u32 v68, v15, 2, 0
	ds_load_2addr_stride64_b32 v[15:16], v53 offset1:10
	v_lshlrev_b32_e32 v5, 2, v50
	v_lshlrev_b32_e32 v1, 2, v0
	v_dual_mul_f32 v85, v18, v9 :: v_dual_lshlrev_b32 v72, 3, v35
	v_dual_mul_f32 v83, v27, v7 :: v_dual_mul_f32 v84, v20, v9
	v_dual_mul_f32 v89, v28, v7 :: v_dual_fmac_f32 v78, v17, v8
	v_mul_f32_e32 v91, v37, v9
	s_delay_alu instid0(VALU_DEP_3)
	v_dual_mul_f32 v95, v56, v7 :: v_dual_fmac_f32 v84, v18, v8
	v_fma_f32 v20, v20, v8, -v85
	v_fma_f32 v19, v19, v8, -v79
	v_and_or_b32 v2, 0x3c0, v2, v66
	v_and_or_b32 v3, 0x5c0, v3, v66
	s_wait_dscnt 0x1
	v_mul_f32_e32 v80, v30, v11
	v_and_or_b32 v31, 0x9f0, v5, v61
	s_wait_dscnt 0x0
	v_mul_f32_e32 v76, v16, v7
	v_and_or_b32 v12, 0x1f0, v1, v61
	v_and_or_b32 v1, 0x1c0, v1, v66
	;; [unrolled: 1-line block ×3, first 2 shown]
	v_lshl_add_u32 v71, v31, 2, 0
	ds_load_2addr_stride64_b32 v[31:32], v53 offset0:12 offset1:14
	v_lshl_add_u32 v67, v12, 2, 0
	ds_load_2addr_stride64_b32 v[35:36], v53 offset0:32 offset1:34
	ds_load_2addr_stride64_b32 v[39:40], v53 offset0:24 offset1:26
	;; [unrolled: 1-line block ×4, first 2 shown]
	ds_load_b32 v12, v43
	ds_load_b32 v73, v44
	;; [unrolled: 1-line block ×4, first 2 shown]
	v_dual_mul_f32 v87, v33, v11 :: v_dual_mul_f32 v18, v38, v9
	global_wb scope:SCOPE_SE
	s_wait_dscnt 0x0
	s_barrier_signal -1
	s_barrier_wait -1
	global_inv scope:SCOPE_SE
	v_lshl_add_u32 v5, v5, 2, 0
	v_dual_mul_f32 v86, v35, v11 :: v_dual_mul_f32 v17, v40, v9
	v_mul_f32_e32 v92, v36, v11
	v_dual_mul_f32 v90, v39, v9 :: v_dual_mul_f32 v79, v60, v11
	v_mul_f32_e32 v82, v31, v7
	v_mul_f32_e32 v88, v32, v7
	;; [unrolled: 1-line block ×3, first 2 shown]
	v_dual_mul_f32 v85, v58, v11 :: v_dual_fmac_f32 v86, v33, v10
	s_delay_alu instid0(VALU_DEP_4) | instskip(NEXT) | instid1(VALU_DEP_4)
	v_fmac_f32_e32 v82, v27, v6
	v_dual_mul_f32 v27, v55, v7 :: v_dual_fmac_f32 v88, v28, v6
	v_fma_f32 v28, v31, v6, -v83
	v_fma_f32 v31, v32, v6, -v89
	v_mul_f32_e32 v32, v29, v9
	s_delay_alu instid0(VALU_DEP_4) | instskip(SKIP_2) | instid1(VALU_DEP_3)
	v_dual_mul_f32 v94, v54, v7 :: v_dual_fmac_f32 v27, v57, v6
	v_mul_f32_e32 v33, v61, v11
	v_mul_f32_e32 v9, v25, v9
	v_dual_mul_f32 v11, v59, v11 :: v_dual_fmac_f32 v94, v56, v6
	v_fmac_f32_e32 v17, v38, v8
	v_dual_mul_f32 v7, v57, v7 :: v_dual_fmac_f32 v92, v34, v10
	v_fmac_f32_e32 v76, v14, v6
	v_fma_f32 v14, v16, v6, -v77
	v_fma_f32 v16, v30, v10, -v81
	;; [unrolled: 1-line block ×4, first 2 shown]
	v_fmac_f32_e32 v80, v26, v10
	v_fma_f32 v36, v39, v8, -v91
	v_fma_f32 v26, v54, v6, -v95
	;; [unrolled: 1-line block ×3, first 2 shown]
	v_dual_sub_f32 v35, v31, v35 :: v_dual_fmac_f32 v90, v37, v8
	v_fmac_f32_e32 v79, v58, v10
	v_fma_f32 v18, v40, v8, -v18
	v_dual_fmac_f32 v32, v25, v8 :: v_dual_fmac_f32 v33, v59, v10
	v_fma_f32 v6, v55, v6, -v7
	v_fma_f32 v7, v29, v8, -v9
	;; [unrolled: 1-line block ×3, first 2 shown]
	v_dual_sub_f32 v9, v13, v78 :: v_dual_sub_f32 v10, v15, v19
	v_dual_sub_f32 v16, v14, v16 :: v_dual_sub_f32 v29, v28, v34
	v_sub_f32_e32 v37, v88, v92
	v_dual_sub_f32 v11, v76, v80 :: v_dual_sub_f32 v34, v63, v90
	v_dual_sub_f32 v20, v12, v20 :: v_dual_sub_f32 v25, v82, v86
	;; [unrolled: 1-line block ×3, first 2 shown]
	v_sub_f32_e32 v30, v26, v30
	v_sub_f32_e32 v19, v62, v84
	v_dual_sub_f32 v18, v74, v18 :: v_dual_sub_f32 v7, v75, v7
	v_dual_sub_f32 v38, v94, v79 :: v_dual_sub_f32 v33, v27, v33
	;; [unrolled: 1-line block ×3, first 2 shown]
	v_sub_f32_e32 v8, v6, v8
	v_fma_f32 v15, v15, 2.0, -v10
	v_fma_f32 v14, v14, 2.0, -v16
	v_fma_f32 v13, v13, 2.0, -v9
	v_fma_f32 v39, v76, 2.0, -v11
	v_sub_f32_e32 v40, v10, v11
	v_fma_f32 v12, v12, 2.0, -v20
	v_fma_f32 v54, v82, 2.0, -v25
	;; [unrolled: 1-line block ×4, first 2 shown]
	v_add_f32_e32 v30, v17, v30
	v_fma_f32 v11, v62, 2.0, -v19
	v_dual_add_f32 v16, v9, v16 :: v_dual_add_f32 v29, v19, v29
	v_fma_f32 v25, v63, 2.0, -v34
	v_fma_f32 v56, v73, 2.0, -v36
	v_fma_f32 v57, v88, 2.0, -v37
	v_fma_f32 v31, v31, 2.0, -v35
	v_add_f32_e32 v35, v34, v35
	v_sub_f32_e32 v37, v36, v37
	v_fma_f32 v58, v64, 2.0, -v17
	v_fma_f32 v60, v94, 2.0, -v38
	v_dual_sub_f32 v38, v18, v38 :: v_dual_sub_f32 v39, v13, v39
	v_fma_f32 v61, v65, 2.0, -v32
	v_fma_f32 v27, v27, 2.0, -v33
	;; [unrolled: 1-line block ×5, first 2 shown]
	v_dual_add_f32 v8, v32, v8 :: v_dual_sub_f32 v63, v15, v14
	v_sub_f32_e32 v33, v7, v33
	v_fma_f32 v64, v10, 2.0, -v40
	v_sub_f32_e32 v10, v11, v54
	v_sub_f32_e32 v54, v12, v28
	v_fma_f32 v14, v19, 2.0, -v29
	v_sub_f32_e32 v19, v25, v57
	v_sub_f32_e32 v57, v59, v26
	;; [unrolled: 1-line block ×3, first 2 shown]
	v_fma_f32 v28, v34, 2.0, -v35
	v_fma_f32 v34, v36, 2.0, -v37
	v_sub_f32_e32 v36, v58, v60
	v_fma_f32 v60, v18, 2.0, -v38
	v_sub_f32_e32 v18, v61, v27
	v_sub_f32_e32 v6, v62, v6
	v_fma_f32 v26, v32, 2.0, -v8
	v_fma_f32 v32, v15, 2.0, -v63
	;; [unrolled: 1-line block ×15, first 2 shown]
	ds_store_2addr_b32 v67, v39, v16 offset0:8 offset1:12
	ds_store_2addr_b32 v67, v13, v9 offset1:4
	ds_store_2addr_b32 v68, v11, v14 offset1:4
	ds_store_2addr_b32 v68, v10, v29 offset0:8 offset1:12
	ds_store_2addr_b32 v69, v12, v28 offset1:4
	ds_store_2addr_b32 v69, v19, v35 offset0:8 offset1:12
	;; [unrolled: 2-line block ×4, first 2 shown]
	global_wb scope:SCOPE_SE
	s_wait_dscnt 0x0
	s_barrier_signal -1
	s_barrier_wait -1
	global_inv scope:SCOPE_SE
	ds_load_2addr_stride64_b32 v[10:11], v53 offset1:10
	ds_load_2addr_stride64_b32 v[12:13], v53 offset0:20 offset1:22
	ds_load_2addr_stride64_b32 v[14:15], v53 offset0:28 offset1:30
	;; [unrolled: 1-line block ×7, first 2 shown]
	ds_load_b32 v61, v43
	ds_load_b32 v62, v44
	;; [unrolled: 1-line block ×4, first 2 shown]
	global_wb scope:SCOPE_SE
	s_wait_dscnt 0x0
	s_barrier_signal -1
	s_barrier_wait -1
	global_inv scope:SCOPE_SE
	ds_store_2addr_b32 v67, v32, v64 offset1:4
	ds_store_2addr_b32 v67, v63, v40 offset0:8 offset1:12
	ds_store_2addr_b32 v68, v65, v20 offset1:4
	ds_store_2addr_b32 v68, v54, v55 offset0:8 offset1:12
	;; [unrolled: 2-line block ×5, first 2 shown]
	global_wb scope:SCOPE_SE
	s_wait_dscnt 0x0
	s_barrier_signal -1
	s_barrier_wait -1
	global_inv scope:SCOPE_SE
	s_clause 0x1
	global_load_b128 v[6:9], v72, s[8:9] offset:96
	global_load_b64 v[31:32], v72, s[8:9] offset:112
	v_lshl_add_u32 v59, v1, 2, 0
	v_lshl_add_u32 v60, v2, 2, 0
	ds_load_2addr_stride64_b32 v[1:2], v53 offset1:10
	v_and_or_b32 v20, 0x7c0, v4, v66
	v_lshl_add_u32 v63, v3, 2, 0
	ds_load_2addr_stride64_b32 v[3:4], v53 offset0:20 offset1:22
	v_and_b32_e32 v56, 63, v0
	ds_load_2addr_stride64_b32 v[33:34], v53 offset0:28 offset1:30
	ds_load_2addr_stride64_b32 v[35:36], v53 offset0:12 offset1:14
	v_lshl_add_u32 v64, v20, 2, 0
	s_wait_loadcnt_dscnt 0x103
	v_mul_f32_e32 v69, v2, v7
	v_mul_u32_u24_e32 v37, 9, v56
	s_wait_dscnt 0x2
	v_mul_f32_e32 v71, v3, v9
	s_wait_loadcnt_dscnt 0x1
	v_dual_mul_f32 v70, v11, v7 :: v_dual_mul_f32 v75, v34, v32
	s_wait_dscnt 0x0
	v_dual_mul_f32 v72, v12, v9 :: v_dual_mul_f32 v77, v35, v7
	v_lshlrev_b32_e32 v65, 3, v37
	ds_load_2addr_stride64_b32 v[37:38], v53 offset0:32 offset1:34
	ds_load_2addr_stride64_b32 v[39:40], v53 offset0:24 offset1:26
	;; [unrolled: 1-line block ×4, first 2 shown]
	ds_load_b32 v20, v43
	ds_load_b32 v66, v44
	;; [unrolled: 1-line block ×4, first 2 shown]
	v_mul_f32_e32 v78, v16, v7
	v_dual_mul_f32 v80, v13, v9 :: v_dual_mul_f32 v83, v36, v7
	v_mul_f32_e32 v82, v18, v32
	v_dual_fmac_f32 v71, v12, v8 :: v_dual_mul_f32 v12, v33, v9
	v_dual_mul_f32 v76, v15, v32 :: v_dual_mul_f32 v79, v4, v9
	v_mul_f32_e32 v84, v17, v7
	v_fma_f32 v4, v4, v8, -v80
	s_delay_alu instid0(VALU_DEP_4)
	v_dual_fmac_f32 v83, v17, v6 :: v_dual_fmac_f32 v12, v14, v8
	s_wait_dscnt 0x7
	v_mul_f32_e32 v81, v37, v32
	s_wait_dscnt 0x6
	v_mul_f32_e32 v85, v39, v9
	v_fma_f32 v17, v35, v6, -v78
	v_dual_fmac_f32 v69, v11, v6 :: v_dual_sub_f32 v12, v74, v12
	s_wait_dscnt 0x3
	v_dual_fmac_f32 v81, v18, v31 :: v_dual_sub_f32 v4, v20, v4
	v_fma_f32 v18, v37, v31, -v82
	v_dual_fmac_f32 v75, v15, v31 :: v_dual_mul_f32 v86, v25, v9
	v_dual_mul_f32 v89, v54, v7 :: v_dual_mul_f32 v88, v19, v32
	v_mul_f32_e32 v91, v40, v9
	v_dual_mul_f32 v92, v26, v9 :: v_dual_mul_f32 v95, v55, v7
	v_fma_f32 v3, v3, v8, -v72
	v_dual_sub_f32 v18, v17, v18 :: v_dual_mul_f32 v9, v14, v9
	v_dual_sub_f32 v14, v69, v75 :: v_dual_mul_f32 v87, v38, v32
	v_dual_mul_f32 v90, v27, v7 :: v_dual_mul_f32 v93, v57, v32
	v_dual_mul_f32 v94, v29, v32 :: v_dual_mul_f32 v7, v28, v7
	v_dual_fmac_f32 v77, v16, v6 :: v_dual_mul_f32 v16, v30, v32
	v_fma_f32 v11, v34, v31, -v76
	v_fma_f32 v34, v69, 2.0, -v14
	v_sub_f32_e32 v3, v1, v3
	v_fmac_f32_e32 v91, v26, v8
	v_fma_f32 v26, v40, v8, -v92
	v_fmac_f32_e32 v87, v19, v31
	v_fma_f32 v2, v2, v6, -v70
	;; [unrolled: 2-line block ×3, first 2 shown]
	s_wait_dscnt 0x1
	v_sub_f32_e32 v26, v67, v26
	v_fmac_f32_e32 v89, v27, v6
	v_fma_f32 v25, v54, v6, -v90
	v_dual_fmac_f32 v95, v28, v6 :: v_dual_sub_f32 v28, v77, v81
	v_fmac_f32_e32 v79, v13, v8
	v_mul_f32_e32 v13, v58, v32
	v_fma_f32 v32, v36, v6, -v84
	v_fma_f32 v6, v55, v6, -v7
	;; [unrolled: 1-line block ×4, first 2 shown]
	v_fma_f32 v17, v17, 2.0, -v18
	v_fma_f32 v36, v77, 2.0, -v28
	v_fma_f32 v1, v1, 2.0, -v3
	v_fma_f32 v19, v38, v31, -v88
	v_sub_f32_e32 v8, v6, v8
	v_fmac_f32_e32 v13, v30, v31
	v_sub_f32_e32 v30, v83, v87
	v_sub_f32_e32 v16, v61, v79
	v_fmac_f32_e32 v93, v29, v31
	v_fma_f32 v6, v6, 2.0, -v8
	v_add_f32_e32 v8, v12, v8
	v_fma_f32 v20, v20, 2.0, -v4
	s_delay_alu instid0(VALU_DEP_4)
	v_dual_add_f32 v18, v16, v18 :: v_dual_sub_f32 v33, v89, v93
	v_fma_f32 v35, v61, 2.0, -v16
	v_sub_f32_e32 v11, v2, v11
	v_sub_f32_e32 v15, v66, v15
	v_fma_f32 v27, v57, v31, -v94
	v_sub_f32_e32 v58, v26, v33
	v_sub_f32_e32 v13, v95, v13
	v_fma_f32 v54, v89, 2.0, -v33
	v_fma_f32 v33, v74, 2.0, -v12
	v_sub_f32_e32 v36, v35, v36
	v_fma_f32 v2, v2, 2.0, -v11
	v_sub_f32_e32 v9, v10, v71
	v_fma_f32 v61, v95, 2.0, -v13
	s_wait_dscnt 0x0
	v_sub_f32_e32 v7, v68, v7
	v_dual_sub_f32 v37, v4, v28 :: v_dual_sub_f32 v2, v1, v2
	v_fma_f32 v10, v10, 2.0, -v9
	v_sub_f32_e32 v27, v25, v27
	s_delay_alu instid0(VALU_DEP_4)
	v_fma_f32 v55, v68, 2.0, -v7
	v_sub_f32_e32 v29, v62, v85
	v_fma_f32 v39, v83, 2.0, -v30
	v_sub_f32_e32 v34, v10, v34
	v_sub_f32_e32 v14, v3, v14
	v_dual_sub_f32 v6, v55, v6 :: v_dual_sub_f32 v31, v73, v91
	v_fma_f32 v28, v62, 2.0, -v29
	v_sub_f32_e32 v62, v20, v17
	v_fma_f32 v38, v66, 2.0, -v15
	v_sub_f32_e32 v19, v32, v19
	v_sub_f32_e32 v57, v15, v30
	v_fma_f32 v30, v73, 2.0, -v31
	v_fma_f32 v40, v67, 2.0, -v26
	;; [unrolled: 1-line block ×4, first 2 shown]
	v_add_f32_e32 v11, v9, v11
	v_sub_f32_e32 v17, v28, v39
	v_fma_f32 v68, v26, 2.0, -v58
	v_sub_f32_e32 v26, v33, v61
	v_sub_f32_e32 v66, v38, v32
	v_dual_sub_f32 v32, v30, v54 :: v_dual_add_f32 v27, v31, v27
	v_add_f32_e32 v19, v29, v19
	v_sub_f32_e32 v67, v40, v25
	v_fma_f32 v9, v9, 2.0, -v11
	v_fma_f32 v10, v10, 2.0, -v34
	v_fma_f32 v16, v16, 2.0, -v18
	v_fma_f32 v25, v31, 2.0, -v27
	v_fma_f32 v31, v35, 2.0, -v36
	v_fma_f32 v29, v29, 2.0, -v19
	v_fma_f32 v61, v20, 2.0, -v62
	v_fma_f32 v20, v28, 2.0, -v17
	v_fma_f32 v28, v30, 2.0, -v32
	v_fma_f32 v30, v33, 2.0, -v26
	global_wb scope:SCOPE_SE
	s_barrier_signal -1
	s_barrier_wait -1
	global_inv scope:SCOPE_SE
	v_fma_f32 v12, v12, 2.0, -v8
	v_fma_f32 v69, v40, 2.0, -v67
	;; [unrolled: 1-line block ×3, first 2 shown]
	ds_store_2addr_b32 v59, v34, v11 offset0:32 offset1:48
	ds_store_2addr_b32 v59, v10, v9 offset1:16
	ds_store_2addr_b32 v60, v31, v16 offset1:16
	ds_store_2addr_b32 v60, v36, v18 offset0:32 offset1:48
	ds_store_2addr_b32 v63, v20, v29 offset1:16
	ds_store_2addr_b32 v63, v17, v19 offset0:32 offset1:48
	;; [unrolled: 2-line block ×4, first 2 shown]
	global_wb scope:SCOPE_SE
	s_wait_dscnt 0x0
	s_barrier_signal -1
	s_barrier_wait -1
	global_inv scope:SCOPE_SE
	ds_load_2addr_stride64_b32 v[17:18], v53 offset1:6
	ds_load_2addr_stride64_b32 v[35:36], v53 offset0:10 offset1:12
	ds_load_2addr_stride64_b32 v[33:34], v53 offset0:14 offset1:16
	;; [unrolled: 1-line block ×7, first 2 shown]
	ds_load_b32 v54, v52
	ds_load_b32 v55, v44
	;; [unrolled: 1-line block ×3, first 2 shown]
	ds_load_b32 v40, v53 offset:9728
	v_sub_f32_e32 v13, v7, v13
	v_fma_f32 v3, v3, 2.0, -v14
	v_fma_f32 v1, v1, 2.0, -v2
	;; [unrolled: 1-line block ×6, first 2 shown]
	global_wb scope:SCOPE_SE
	s_wait_dscnt 0x0
	s_barrier_signal -1
	s_barrier_wait -1
	global_inv scope:SCOPE_SE
	ds_store_2addr_b32 v59, v1, v3 offset1:16
	ds_store_2addr_b32 v59, v2, v14 offset0:32 offset1:48
	ds_store_2addr_b32 v60, v61, v4 offset1:16
	ds_store_2addr_b32 v60, v62, v37 offset0:32 offset1:48
	;; [unrolled: 2-line block ×5, first 2 shown]
	global_wb scope:SCOPE_SE
	s_wait_dscnt 0x0
	s_barrier_signal -1
	s_barrier_wait -1
	global_inv scope:SCOPE_SE
	s_clause 0x4
	global_load_b128 v[13:16], v65, s[8:9] offset:480
	global_load_b128 v[9:12], v65, s[8:9] offset:496
	;; [unrolled: 1-line block ×4, first 2 shown]
	global_load_b64 v[37:38], v65, s[8:9] offset:544
	v_lshrrev_b32_e32 v57, 6, v47
	v_lshrrev_b32_e32 v58, 6, v0
	ds_load_b32 v72, v44
	v_mul_lo_u32 v57, 0x280, v57
	v_mul_u32_u24_e32 v58, 0x280, v58
	s_delay_alu instid0(VALU_DEP_1) | instskip(NEXT) | instid1(VALU_DEP_3)
	v_or_b32_e32 v58, v58, v56
	v_or_b32_e32 v60, v57, v56
	ds_load_b32 v73, v52
	ds_load_2addr_stride64_b32 v[56:57], v53 offset0:10 offset1:12
	v_lshl_add_u32 v74, v58, 2, 0
	ds_load_2addr_stride64_b32 v[58:59], v53 offset0:14 offset1:16
	v_lshl_add_u32 v75, v60, 2, 0
	ds_load_2addr_stride64_b32 v[60:61], v53 offset0:18 offset1:20
	ds_load_2addr_stride64_b32 v[62:63], v53 offset1:6
	ds_load_2addr_stride64_b32 v[64:65], v53 offset0:22 offset1:24
	ds_load_2addr_stride64_b32 v[66:67], v53 offset0:26 offset1:28
	ds_load_2addr_stride64_b32 v[68:69], v53 offset0:30 offset1:32
	ds_load_2addr_stride64_b32 v[70:71], v53 offset0:34 offset1:36
	ds_load_b32 v76, v43
	ds_load_b32 v77, v53 offset:9728
	global_wb scope:SCOPE_SE
	s_wait_loadcnt_dscnt 0x0
	s_barrier_signal -1
	s_barrier_wait -1
	global_inv scope:SCOPE_SE
	v_mul_f32_e32 v78, v72, v14
	v_mul_f32_e32 v80, v73, v16
	v_dual_mul_f32 v81, v54, v16 :: v_dual_mul_f32 v92, v67, v2
	v_mul_f32_e32 v88, v63, v14
	v_mul_f32_e32 v79, v55, v14
	v_dual_mul_f32 v14, v18, v14 :: v_dual_mul_f32 v89, v56, v16
	v_mul_f32_e32 v16, v35, v16
	v_mul_f32_e32 v82, v57, v10
	v_dual_mul_f32 v83, v36, v10 :: v_dual_fmac_f32 v78, v55, v13
	v_mul_f32_e32 v84, v59, v12
	v_dual_mul_f32 v85, v34, v12 :: v_dual_mul_f32 v86, v61, v6
	v_dual_mul_f32 v87, v32, v6 :: v_dual_mul_f32 v90, v65, v8
	v_mul_f32_e32 v91, v30, v8
	v_mul_f32_e32 v93, v28, v2
	v_dual_mul_f32 v55, v69, v4 :: v_dual_fmac_f32 v82, v36, v9
	v_fmac_f32_e32 v80, v54, v15
	v_mul_f32_e32 v54, v58, v10
	v_fma_f32 v73, v73, v15, -v81
	v_dual_mul_f32 v81, v71, v38 :: v_dual_fmac_f32 v84, v34, v11
	v_fmac_f32_e32 v88, v18, v13
	v_fma_f32 v72, v72, v13, -v79
	v_dual_mul_f32 v79, v26, v4 :: v_dual_mul_f32 v18, v64, v6
	v_fma_f32 v13, v63, v13, -v14
	v_fma_f32 v14, v56, v15, -v16
	v_mul_f32_e32 v10, v33, v10
	v_mul_f32_e32 v16, v20, v38
	v_dual_mul_f32 v6, v29, v6 :: v_dual_fmac_f32 v89, v35, v15
	v_dual_fmac_f32 v54, v33, v9 :: v_dual_mul_f32 v15, v60, v12
	v_mul_f32_e32 v12, v31, v12
	v_fma_f32 v35, v57, v9, -v83
	v_mul_f32_e32 v36, v66, v8
	v_dual_mul_f32 v8, v27, v8 :: v_dual_mul_f32 v33, v68, v2
	v_mul_f32_e32 v2, v25, v2
	v_fma_f32 v34, v59, v11, -v85
	v_fma_f32 v9, v58, v9, -v10
	v_dual_mul_f32 v10, v70, v4 :: v_dual_fmac_f32 v15, v31, v11
	v_dual_mul_f32 v4, v19, v4 :: v_dual_mul_f32 v31, v40, v38
	v_fma_f32 v11, v60, v11, -v12
	v_dual_mul_f32 v12, v77, v38 :: v_dual_fmac_f32 v55, v26, v3
	v_dual_fmac_f32 v90, v30, v7 :: v_dual_fmac_f32 v81, v20, v37
	v_fmac_f32_e32 v86, v32, v5
	v_fma_f32 v32, v61, v5, -v87
	v_fmac_f32_e32 v18, v29, v5
	v_fma_f32 v29, v65, v7, -v91
	;; [unrolled: 2-line block ×3, first 2 shown]
	v_fma_f32 v26, v69, v3, -v79
	v_fma_f32 v16, v71, v37, -v16
	;; [unrolled: 1-line block ×3, first 2 shown]
	v_dual_fmac_f32 v36, v27, v7 :: v_dual_fmac_f32 v33, v25, v1
	v_fma_f32 v6, v66, v7, -v8
	v_fma_f32 v1, v68, v1, -v2
	v_dual_fmac_f32 v10, v19, v3 :: v_dual_sub_f32 v25, v84, v80
	v_fma_f32 v2, v70, v3, -v4
	v_fmac_f32_e32 v12, v40, v37
	v_fma_f32 v3, v77, v37, -v31
	v_sub_f32_e32 v37, v73, v34
	v_dual_add_f32 v4, v17, v80 :: v_dual_add_f32 v31, v34, v29
	v_add_f32_e32 v7, v84, v90
	v_dual_sub_f32 v8, v80, v84 :: v_dual_sub_f32 v57, v29, v26
	v_sub_f32_e32 v19, v55, v90
	v_sub_f32_e32 v27, v90, v55
	v_dual_add_f32 v20, v80, v55 :: v_dual_add_f32 v59, v86, v92
	v_dual_add_f32 v30, v62, v73 :: v_dual_sub_f32 v61, v81, v92
	v_dual_sub_f32 v38, v26, v29 :: v_dual_add_f32 v67, v32, v28
	v_dual_add_f32 v40, v73, v26 :: v_dual_add_f32 v63, v82, v81
	v_dual_sub_f32 v56, v34, v73 :: v_dual_sub_f32 v69, v16, v28
	v_dual_add_f32 v58, v78, v82 :: v_dual_sub_f32 v65, v92, v81
	v_dual_sub_f32 v60, v82, v86 :: v_dual_sub_f32 v71, v32, v35
	v_dual_sub_f32 v64, v86, v82 :: v_dual_sub_f32 v77, v28, v16
	;; [unrolled: 1-line block ×3, first 2 shown]
	v_dual_add_f32 v70, v35, v16 :: v_dual_add_f32 v91, v89, v10
	v_dual_add_f32 v66, v72, v35 :: v_dual_add_f32 v79, v39, v89
	;; [unrolled: 1-line block ×3, first 2 shown]
	v_sub_f32_e32 v87, v10, v36
	v_sub_f32_e32 v93, v15, v89
	;; [unrolled: 1-line block ×3, first 2 shown]
	v_fma_f32 v7, -0.5, v7, v17
	v_dual_fmac_f32 v17, -0.5, v20 :: v_dual_add_f32 v20, v76, v14
	v_dual_add_f32 v25, v25, v27 :: v_dual_add_f32 v56, v56, v57
	v_dual_add_f32 v27, v11, v6 :: v_dual_add_f32 v60, v60, v61
	v_dual_add_f32 v37, v37, v38 :: v_dual_sub_f32 v38, v14, v11
	v_fma_f32 v31, -0.5, v31, v62
	v_fmac_f32_e32 v62, -0.5, v40
	v_sub_f32_e32 v40, v2, v6
	v_dual_add_f32 v57, v14, v2 :: v_dual_add_f32 v64, v64, v65
	v_dual_sub_f32 v61, v11, v14 :: v_dual_add_f32 v68, v68, v69
	v_fma_f32 v59, -0.5, v59, v78
	v_dual_fmac_f32 v78, -0.5, v63 :: v_dual_sub_f32 v63, v6, v2
	v_sub_f32_e32 v65, v54, v18
	v_sub_f32_e32 v69, v12, v33
	v_fma_f32 v67, -0.5, v67, v72
	v_fmac_f32_e32 v72, -0.5, v70
	v_dual_add_f32 v70, v18, v33 :: v_dual_add_f32 v85, v85, v87
	v_dual_add_f32 v71, v71, v77 :: v_dual_add_f32 v38, v38, v40
	v_add_f32_e32 v77, v54, v12
	v_fma_f32 v83, -0.5, v83, v39
	v_fmac_f32_e32 v39, -0.5, v91
	v_dual_sub_f32 v91, v18, v54 :: v_dual_add_f32 v4, v4, v84
	v_add_f32_e32 v19, v93, v19
	v_sub_f32_e32 v40, v9, v5
	v_fma_f32 v94, -0.5, v27, v76
	v_dual_fmac_f32 v76, -0.5, v57 :: v_dual_add_f32 v57, v61, v63
	v_add_f32_e32 v63, v65, v69
	v_fma_f32 v69, -0.5, v70, v88
	v_sub_f32_e32 v70, v5, v9
	v_sub_f32_e32 v93, v33, v12
	v_dual_add_f32 v87, v88, v54 :: v_dual_fmac_f32 v88, -0.5, v77
	v_dual_sub_f32 v27, v3, v1 :: v_dual_add_f32 v30, v30, v34
	s_delay_alu instid0(VALU_DEP_3) | instskip(SKIP_4) | instid1(VALU_DEP_4)
	v_dual_add_f32 v77, v91, v93 :: v_dual_sub_f32 v80, v80, v55
	v_dual_sub_f32 v91, v1, v3 :: v_dual_sub_f32 v14, v14, v2
	v_dual_add_f32 v61, v5, v1 :: v_dual_add_f32 v58, v58, v86
	v_dual_add_f32 v65, v9, v3 :: v_dual_sub_f32 v82, v82, v81
	v_dual_add_f32 v27, v40, v27 :: v_dual_add_f32 v40, v13, v9
	v_add_f32_e32 v70, v70, v91
	v_dual_sub_f32 v91, v34, v29 :: v_dual_sub_f32 v34, v32, v28
	v_add_f32_e32 v32, v66, v32
	v_fma_f32 v61, -0.5, v61, v13
	v_dual_fmac_f32 v13, -0.5, v65 :: v_dual_sub_f32 v66, v11, v6
	v_dual_sub_f32 v65, v84, v90 :: v_dual_sub_f32 v54, v54, v12
	v_sub_f32_e32 v84, v86, v92
	v_dual_sub_f32 v86, v15, v36 :: v_dual_sub_f32 v73, v73, v26
	v_dual_sub_f32 v35, v35, v16 :: v_dual_add_f32 v4, v4, v90
	v_dual_sub_f32 v9, v9, v3 :: v_dual_add_f32 v28, v32, v28
	v_dual_add_f32 v11, v20, v11 :: v_dual_sub_f32 v20, v18, v33
	v_add_f32_e32 v18, v87, v18
	v_fmamk_f32 v32, v91, 0x3f737871, v17
	v_add_f32_e32 v15, v79, v15
	s_delay_alu instid0(VALU_DEP_4)
	v_dual_sub_f32 v79, v5, v1 :: v_dual_add_f32 v6, v11, v6
	v_add_f32_e32 v5, v40, v5
	v_sub_f32_e32 v89, v89, v10
	v_add_f32_e32 v29, v30, v29
	v_dual_add_f32 v30, v58, v92 :: v_dual_fmamk_f32 v11, v73, 0xbf737871, v7
	v_dual_add_f32 v4, v4, v55 :: v_dual_fmac_f32 v7, 0x3f737871, v73
	v_fmamk_f32 v40, v34, 0x3f737871, v78
	v_dual_add_f32 v18, v18, v33 :: v_dual_add_f32 v15, v15, v36
	v_dual_fmamk_f32 v36, v35, 0xbf737871, v59 :: v_dual_add_f32 v1, v5, v1
	v_fmamk_f32 v58, v82, 0x3f737871, v67
	v_fmac_f32_e32 v17, 0xbf737871, v91
	v_fmamk_f32 v5, v80, 0x3f737871, v31
	v_dual_fmamk_f32 v33, v65, 0xbf737871, v62 :: v_dual_fmamk_f32 v90, v14, 0xbf737871, v83
	v_fmac_f32_e32 v62, 0x3f737871, v65
	v_dual_fmac_f32 v78, 0xbf737871, v34 :: v_dual_fmac_f32 v31, 0xbf737871, v80
	v_add_f32_e32 v26, v29, v26
	v_fmac_f32_e32 v67, 0xbf737871, v82
	v_dual_fmac_f32 v7, 0x3f167918, v91 :: v_dual_fmac_f32 v58, 0x3f167918, v84
	v_fmac_f32_e32 v59, 0x3f737871, v35
	v_dual_fmamk_f32 v87, v84, 0xbf737871, v72 :: v_dual_add_f32 v30, v30, v81
	v_dual_fmac_f32 v72, 0x3f737871, v84 :: v_dual_fmac_f32 v83, 0x3f737871, v14
	v_add_f32_e32 v16, v28, v16
	v_dual_fmamk_f32 v92, v66, 0x3f737871, v39 :: v_dual_fmamk_f32 v55, v89, 0x3f737871, v94
	v_fmac_f32_e32 v94, 0xbf737871, v89
	v_dual_fmac_f32 v11, 0xbf167918, v91 :: v_dual_fmac_f32 v32, 0xbf167918, v73
	v_fmamk_f32 v91, v86, 0xbf737871, v76
	v_dual_fmac_f32 v17, 0x3f167918, v73 :: v_dual_fmac_f32 v78, 0x3f167918, v35
	v_dual_fmamk_f32 v73, v9, 0xbf737871, v69 :: v_dual_add_f32 v10, v15, v10
	v_fmamk_f32 v29, v79, 0x3f737871, v88
	v_fmac_f32_e32 v88, 0xbf737871, v79
	v_dual_fmac_f32 v31, 0xbf167918, v65 :: v_dual_fmac_f32 v62, 0xbf167918, v80
	v_fmac_f32_e32 v33, 0x3f167918, v80
	v_fmamk_f32 v80, v20, 0xbf737871, v13
	s_delay_alu instid0(VALU_DEP_4)
	v_fmac_f32_e32 v88, 0x3f167918, v9
	v_fmac_f32_e32 v5, 0x3f167918, v65
	v_dual_fmac_f32 v36, 0xbf167918, v34 :: v_dual_fmac_f32 v67, 0xbf167918, v84
	v_fmac_f32_e32 v58, 0x3e9e377a, v68
	v_fmac_f32_e32 v39, 0xbf737871, v66
	v_dual_fmac_f32 v76, 0x3f737871, v86 :: v_dual_fmac_f32 v69, 0x3f737871, v9
	v_add_f32_e32 v2, v6, v2
	v_fmamk_f32 v65, v54, 0x3f737871, v61
	v_dual_fmac_f32 v72, 0xbf167918, v82 :: v_dual_fmac_f32 v73, 0xbf167918, v79
	v_dual_fmac_f32 v90, 0xbf167918, v66 :: v_dual_add_f32 v1, v1, v3
	v_fmac_f32_e32 v94, 0xbf167918, v86
	v_add_f32_e32 v6, v18, v12
	v_fmac_f32_e32 v80, 0x3f167918, v54
	v_dual_fmac_f32 v11, 0x3e9e377a, v8 :: v_dual_fmac_f32 v32, 0x3e9e377a, v25
	v_dual_fmac_f32 v7, 0x3e9e377a, v8 :: v_dual_fmac_f32 v72, 0x3e9e377a, v71
	;; [unrolled: 1-line block ×4, first 2 shown]
	v_dual_add_f32 v3, v4, v30 :: v_dual_add_f32 v8, v26, v16
	v_dual_fmac_f32 v40, 0xbf167918, v35 :: v_dual_fmac_f32 v29, 0xbf167918, v9
	v_sub_f32_e32 v9, v26, v16
	v_dual_fmac_f32 v67, 0x3e9e377a, v68 :: v_dual_fmac_f32 v94, 0x3e9e377a, v38
	v_mul_f32_e32 v18, 0x3f4f1bbd, v58
	v_fmac_f32_e32 v59, 0x3f167918, v34
	v_fmac_f32_e32 v61, 0xbf737871, v54
	;; [unrolled: 1-line block ×3, first 2 shown]
	v_sub_f32_e32 v4, v4, v30
	v_mul_f32_e32 v16, 0xbf167918, v67
	v_fmac_f32_e32 v18, 0x3f167918, v36
	v_fmac_f32_e32 v65, 0x3f167918, v20
	;; [unrolled: 1-line block ×3, first 2 shown]
	v_dual_fmac_f32 v31, 0x3e9e377a, v37 :: v_dual_fmac_f32 v40, 0x3e9e377a, v64
	v_dual_fmac_f32 v33, 0x3e9e377a, v56 :: v_dual_fmac_f32 v90, 0x3e9e377a, v85
	s_delay_alu instid0(VALU_DEP_3) | instskip(SKIP_4) | instid1(VALU_DEP_3)
	v_fmac_f32_e32 v16, 0xbf4f1bbd, v59
	v_dual_fmac_f32 v39, 0x3f167918, v14 :: v_dual_add_f32 v14, v2, v1
	v_dual_sub_f32 v1, v2, v1 :: v_dual_mul_f32 v2, 0xbf167918, v58
	v_dual_add_f32 v56, v5, v18 :: v_dual_fmac_f32 v65, 0x3e9e377a, v27
	v_dual_fmac_f32 v13, 0x3f737871, v20 :: v_dual_add_f32 v12, v10, v6
	v_fmac_f32_e32 v2, 0x3f4f1bbd, v36
	v_fmac_f32_e32 v73, 0x3e9e377a, v63
	s_delay_alu instid0(VALU_DEP_4)
	v_mul_f32_e32 v34, 0x3f4f1bbd, v65
	v_fmac_f32_e32 v87, 0x3f167918, v82
	v_fmac_f32_e32 v61, 0xbf167918, v20
	v_mul_f32_e32 v20, 0xbe9e377a, v72
	v_dual_fmac_f32 v76, 0xbf167918, v89 :: v_dual_fmac_f32 v13, 0xbf167918, v54
	v_fmac_f32_e32 v34, 0x3f167918, v73
	v_dual_fmac_f32 v78, 0x3e9e377a, v64 :: v_dual_fmac_f32 v87, 0x3e9e377a, v71
	v_dual_fmac_f32 v91, 0x3f167918, v89 :: v_dual_sub_f32 v6, v10, v6
	s_delay_alu instid0(VALU_DEP_4) | instskip(NEXT) | instid1(VALU_DEP_3)
	v_fmac_f32_e32 v76, 0x3e9e377a, v57
	v_fmac_f32_e32 v20, 0x3f737871, v78
	v_fmac_f32_e32 v55, 0x3f167918, v86
	v_dual_mul_f32 v10, 0xbf737871, v87 :: v_dual_mul_f32 v15, 0xbf737871, v72
	v_fmac_f32_e32 v88, 0x3e9e377a, v77
	s_delay_alu instid0(VALU_DEP_3)
	v_dual_add_f32 v58, v62, v20 :: v_dual_fmac_f32 v55, 0x3e9e377a, v38
	v_dual_add_f32 v38, v7, v16 :: v_dual_fmac_f32 v39, 0x3e9e377a, v19
	v_fmac_f32_e32 v13, 0x3e9e377a, v70
	v_fmac_f32_e32 v15, 0xbe9e377a, v78
	v_dual_fmac_f32 v91, 0x3e9e377a, v57 :: v_dual_fmac_f32 v10, 0x3e9e377a, v40
	v_fmac_f32_e32 v69, 0x3f167918, v79
	s_delay_alu instid0(VALU_DEP_4)
	v_mul_f32_e32 v28, 0xbf737871, v13
	v_fmac_f32_e32 v29, 0x3e9e377a, v77
	v_sub_f32_e32 v7, v7, v16
	v_sub_f32_e32 v16, v62, v20
	v_add_f32_e32 v36, v32, v10
	v_fmac_f32_e32 v28, 0xbe9e377a, v88
	v_fmac_f32_e32 v61, 0x3e9e377a, v27
	v_dual_fmac_f32 v69, 0x3e9e377a, v63 :: v_dual_sub_f32 v10, v32, v10
	v_fmac_f32_e32 v80, 0x3e9e377a, v70
	s_delay_alu instid0(VALU_DEP_4) | instskip(NEXT) | instid1(VALU_DEP_4)
	v_dual_add_f32 v20, v39, v28 :: v_dual_mul_f32 v25, 0xbf4f1bbd, v67
	v_mul_f32_e32 v54, 0xbf4f1bbd, v61
	v_fmac_f32_e32 v83, 0x3f167918, v66
	s_delay_alu instid0(VALU_DEP_4) | instskip(SKIP_1) | instid1(VALU_DEP_4)
	v_mul_f32_e32 v35, 0x3e9e377a, v80
	v_dual_sub_f32 v28, v39, v28 :: v_dual_mul_f32 v13, 0xbe9e377a, v13
	v_fmac_f32_e32 v54, 0x3f167918, v69
	s_delay_alu instid0(VALU_DEP_4)
	v_fmac_f32_e32 v83, 0x3e9e377a, v85
	v_dual_mul_f32 v30, 0xbf167918, v61 :: v_dual_sub_f32 v5, v5, v18
	v_fmac_f32_e32 v35, 0x3f737871, v29
	v_fmac_f32_e32 v13, 0x3f737871, v88
	v_mul_f32_e32 v27, 0xbf737871, v80
	v_fmac_f32_e32 v92, 0x3e9e377a, v19
	v_dual_mul_f32 v19, 0x3e9e377a, v87 :: v_dual_add_f32 v60, v55, v34
	s_delay_alu instid0(VALU_DEP_4) | instskip(NEXT) | instid1(VALU_DEP_4)
	v_dual_fmac_f32 v25, 0x3f167918, v59 :: v_dual_add_f32 v62, v76, v13
	v_dual_fmac_f32 v27, 0x3e9e377a, v29 :: v_dual_sub_f32 v64, v91, v35
	v_fmac_f32_e32 v30, 0xbf4f1bbd, v69
	s_delay_alu instid0(VALU_DEP_4)
	v_fmac_f32_e32 v19, 0x3f737871, v40
	v_add_f32_e32 v37, v17, v15
	v_add_f32_e32 v59, v31, v25
	;; [unrolled: 1-line block ×3, first 2 shown]
	v_dual_sub_f32 v2, v11, v2 :: v_dual_sub_f32 v11, v17, v15
	v_sub_f32_e32 v17, v31, v25
	v_add_f32_e32 v25, v83, v30
	v_sub_f32_e32 v30, v83, v30
	v_dual_mul_f32 v26, 0xbf167918, v65 :: v_dual_add_f32 v57, v33, v19
	v_sub_f32_e32 v15, v33, v19
	v_add_f32_e32 v19, v92, v27
	s_delay_alu instid0(VALU_DEP_3)
	v_dual_sub_f32 v27, v92, v27 :: v_dual_fmac_f32 v26, 0x3f4f1bbd, v73
	v_add_f32_e32 v61, v91, v35
	v_sub_f32_e32 v55, v55, v34
	v_sub_f32_e32 v13, v76, v13
	v_add_f32_e32 v63, v94, v54
	v_add_f32_e32 v18, v90, v26
	v_sub_f32_e32 v26, v90, v26
	ds_store_2addr_stride64_b32 v74, v3, v29 offset1:1
	ds_store_2addr_stride64_b32 v74, v36, v37 offset0:2 offset1:3
	ds_store_2addr_stride64_b32 v74, v38, v4 offset0:4 offset1:5
	;; [unrolled: 1-line block ×4, first 2 shown]
	ds_store_2addr_stride64_b32 v75, v12, v18 offset1:1
	ds_store_2addr_stride64_b32 v75, v19, v20 offset0:2 offset1:3
	ds_store_2addr_stride64_b32 v75, v25, v6 offset0:4 offset1:5
	;; [unrolled: 1-line block ×4, first 2 shown]
	global_wb scope:SCOPE_SE
	s_wait_dscnt 0x0
	s_barrier_signal -1
	s_barrier_wait -1
	global_inv scope:SCOPE_SE
	ds_load_2addr_stride64_b32 v[33:34], v53 offset1:10
	ds_load_2addr_stride64_b32 v[25:26], v53 offset0:20 offset1:22
	ds_load_2addr_stride64_b32 v[39:40], v53 offset0:28 offset1:30
	;; [unrolled: 1-line block ×7, first 2 shown]
	ds_load_b32 v71, v43
	ds_load_b32 v72, v44
	;; [unrolled: 1-line block ×4, first 2 shown]
	v_sub_f32_e32 v2, v94, v54
	global_wb scope:SCOPE_SE
	s_wait_dscnt 0x0
	s_barrier_signal -1
	s_barrier_wait -1
	global_inv scope:SCOPE_SE
	ds_store_2addr_stride64_b32 v74, v8, v56 offset1:1
	ds_store_2addr_stride64_b32 v74, v57, v58 offset0:2 offset1:3
	ds_store_2addr_stride64_b32 v74, v59, v9 offset0:4 offset1:5
	ds_store_2addr_stride64_b32 v74, v5, v15 offset0:6 offset1:7
	ds_store_2addr_stride64_b32 v74, v16, v17 offset0:8 offset1:9
	ds_store_2addr_stride64_b32 v75, v14, v60 offset1:1
	ds_store_2addr_stride64_b32 v75, v61, v62 offset0:2 offset1:3
	ds_store_2addr_stride64_b32 v75, v63, v1 offset0:4 offset1:5
	;; [unrolled: 1-line block ×4, first 2 shown]
	global_wb scope:SCOPE_SE
	s_wait_dscnt 0x0
	s_barrier_signal -1
	s_barrier_wait -1
	global_inv scope:SCOPE_SE
	s_and_saveexec_b32 s2, vcc_lo
	s_cbranch_execz .LBB0_15
; %bb.14:
	v_mul_u32_u24_e32 v3, 3, v0
	v_mul_i32_i24_e32 v1, 3, v50
	v_mov_b32_e32 v2, 0
	v_mul_i32_i24_e32 v54, -12, v47
	v_mul_i32_i24_e32 v74, -12, v48
	v_lshlrev_b32_e32 v5, 3, v3
	v_mul_i32_i24_e32 v75, -12, v49
	v_lshlrev_b64_e32 v[3:4], 3, v[1:2]
	v_mul_i32_i24_e32 v1, 3, v49
	v_mul_i32_i24_e32 v77, -12, v50
	s_clause 0x1
	global_load_b128 v[17:20], v5, s[8:9] offset:5088
	global_load_b64 v[61:62], v5, s[8:9] offset:5104
	v_mul_lo_u32 v78, s1, v23
	v_mul_lo_u32 v81, s0, v24
	v_add_co_u32 v3, vcc_lo, s8, v3
	s_wait_alu 0xfffd
	v_add_co_ci_u32_e32 v4, vcc_lo, s9, v4, vcc_lo
	v_mad_co_u64_u32 v[23:24], null, s0, v23, 0
	s_clause 0x1
	global_load_b128 v[13:16], v[3:4], off offset:5088
	global_load_b64 v[59:60], v[3:4], off offset:5104
	v_lshlrev_b64_e32 v[3:4], 3, v[1:2]
	v_mul_i32_i24_e32 v1, 3, v48
	v_add_nc_u32_e32 v84, 0x180, v0
	v_add_nc_u32_e32 v46, v46, v77
	;; [unrolled: 1-line block ×4, first 2 shown]
	v_add_co_u32 v3, vcc_lo, s8, v3
	s_wait_alu 0xfffd
	v_add_co_ci_u32_e32 v4, vcc_lo, s9, v4, vcc_lo
	s_clause 0x1
	global_load_b128 v[9:12], v[3:4], off offset:5088
	global_load_b64 v[57:58], v[3:4], off offset:5104
	v_lshlrev_b64_e32 v[3:4], 3, v[1:2]
	v_mul_i32_i24_e32 v1, 3, v47
	v_add_nc_u32_e32 v41, v41, v54
	v_add_nc_u32_e32 v83, 0x100, v0
	v_mul_hi_u32 v75, 0xcccccccd, v84
	v_add3_u32 v24, v24, v81, v78
	v_lshlrev_b64_e32 v[1:2], 3, v[1:2]
	v_add_co_u32 v3, vcc_lo, s8, v3
	s_wait_alu 0xfffd
	v_add_co_ci_u32_e32 v4, vcc_lo, s9, v4, vcc_lo
	s_clause 0x1
	global_load_b128 v[5:8], v[3:4], off offset:5088
	global_load_b64 v[55:56], v[3:4], off offset:5104
	v_add_co_u32 v43, vcc_lo, s8, v1
	s_wait_alu 0xfffd
	v_add_co_ci_u32_e32 v44, vcc_lo, s9, v2, vcc_lo
	s_clause 0x1
	global_load_b128 v[1:4], v[43:44], off offset:5088
	global_load_b64 v[43:44], v[43:44], off offset:5104
	ds_load_2addr_stride64_b32 v[79:80], v53 offset0:28 offset1:30
	ds_load_2addr_stride64_b32 v[65:66], v53 offset0:16 offset1:18
	;; [unrolled: 1-line block ×7, first 2 shown]
	ds_load_2addr_stride64_b32 v[69:70], v53 offset1:10
	v_mul_hi_u32 v53, 0xcccccccd, v0
	ds_load_b32 v107, v46
	ds_load_b32 v108, v45
	;; [unrolled: 1-line block ×4, first 2 shown]
	v_mul_hi_u32 v74, 0xcccccccd, v83
	v_lshlrev_b64_e32 v[23:24], 3, v[23:24]
	v_lshrrev_b32_e32 v77, 9, v75
	v_lshlrev_b64_e32 v[21:22], 3, v[21:22]
	v_lshrrev_b32_e32 v53, 9, v53
	s_delay_alu instid0(VALU_DEP_4) | instskip(SKIP_2) | instid1(VALU_DEP_4)
	v_add_co_u32 v23, vcc_lo, s6, v23
	v_lshrrev_b32_e32 v46, 9, v74
	v_mul_u32_u24_e32 v74, 0x280, v77
	v_mul_u32_u24_e32 v41, 0x280, v53
	s_wait_alu 0xfffd
	v_add_co_ci_u32_e32 v24, vcc_lo, s7, v24, vcc_lo
	s_delay_alu instid0(VALU_DEP_3) | instskip(NEXT) | instid1(VALU_DEP_3)
	v_sub_nc_u32_e32 v87, v84, v74
	v_sub_nc_u32_e32 v78, v0, v41
	v_add_co_u32 v74, vcc_lo, v23, v21
	s_wait_alu 0xfffd
	v_add_co_ci_u32_e32 v75, vcc_lo, v24, v22, vcc_lo
	s_delay_alu instid0(VALU_DEP_3) | instskip(SKIP_2) | instid1(VALU_DEP_3)
	v_mad_co_u64_u32 v[41:42], null, s16, v78, 0
	v_add_nc_u32_e32 v82, 0x80, v0
	v_mad_u32_u24 v77, 0xa00, v77, v87
	v_mov_b32_e32 v21, v42
	s_delay_alu instid0(VALU_DEP_3) | instskip(NEXT) | instid1(VALU_DEP_2)
	v_mul_hi_u32 v54, 0xcccccccd, v82
	v_mad_co_u64_u32 v[21:22], null, s17, v78, v[21:22]
	v_add_nc_u32_e32 v101, 0x780, v78
	s_delay_alu instid0(VALU_DEP_3) | instskip(SKIP_1) | instid1(VALU_DEP_4)
	v_lshrrev_b32_e32 v45, 9, v54
	v_mul_u32_u24_e32 v54, 0x280, v46
	v_mov_b32_e32 v42, v21
	s_delay_alu instid0(VALU_DEP_3) | instskip(NEXT) | instid1(VALU_DEP_3)
	v_mul_u32_u24_e32 v53, 0x280, v45
	v_sub_nc_u32_e32 v86, v83, v54
	v_mad_co_u64_u32 v[83:84], null, s16, v101, 0
	s_delay_alu instid0(VALU_DEP_4) | instskip(NEXT) | instid1(VALU_DEP_4)
	v_lshlrev_b64_e32 v[41:42], 3, v[41:42]
	v_sub_nc_u32_e32 v85, v82, v53
	s_delay_alu instid0(VALU_DEP_4) | instskip(NEXT) | instid1(VALU_DEP_2)
	v_mad_u32_u24 v103, 0xa00, v46, v86
	v_mad_u32_u24 v102, 0xa00, v45, v85
	s_delay_alu instid0(VALU_DEP_2) | instskip(SKIP_2) | instid1(VALU_DEP_4)
	v_add_nc_u32_e32 v112, 0x500, v103
	v_mad_co_u64_u32 v[87:88], null, s16, v103, 0
	v_add_nc_u32_e32 v99, 0x280, v78
	v_mad_co_u64_u32 v[85:86], null, s16, v102, 0
	s_delay_alu instid0(VALU_DEP_4) | instskip(SKIP_1) | instid1(VALU_DEP_4)
	v_mad_co_u64_u32 v[97:98], null, s16, v112, 0
	v_add_nc_u32_e32 v100, 0x500, v78
	v_mad_co_u64_u32 v[53:54], null, s16, v99, 0
	v_add_nc_u32_e32 v104, 0x280, v102
	v_mov_b32_e32 v24, v84
	s_delay_alu instid0(VALU_DEP_4) | instskip(SKIP_1) | instid1(VALU_DEP_4)
	v_mad_co_u64_u32 v[81:82], null, s16, v100, 0
	v_add_nc_u32_e32 v106, 0x780, v102
	v_mad_co_u64_u32 v[89:90], null, s16, v104, 0
	v_dual_mov_b32 v22, v54 :: v_dual_add_nc_u32 v105, 0x500, v102
	s_delay_alu instid0(VALU_DEP_3) | instskip(SKIP_1) | instid1(VALU_DEP_1)
	v_mad_co_u64_u32 v[93:94], null, s16, v106, 0
	v_dual_mov_b32 v23, v82 :: v_dual_add_nc_u32 v78, 0x280, v77
	v_mad_co_u64_u32 v[45:46], null, s17, v99, v[22:23]
	v_mad_co_u64_u32 v[99:100], null, s17, v100, v[23:24]
	;; [unrolled: 1-line block ×3, first 2 shown]
	v_dual_mov_b32 v24, v86 :: v_dual_add_nc_u32 v111, 0x280, v103
	s_delay_alu instid0(VALU_DEP_4) | instskip(SKIP_2) | instid1(VALU_DEP_4)
	v_mov_b32_e32 v54, v45
	v_dual_mov_b32 v46, v88 :: v_dual_add_nc_u32 v113, 0x780, v103
	v_mov_b32_e32 v82, v99
	v_mad_co_u64_u32 v[100:101], null, s17, v102, v[24:25]
	v_mov_b32_e32 v24, v90
	v_mad_co_u64_u32 v[91:92], null, s16, v105, 0
	v_mad_co_u64_u32 v[95:96], null, s16, v111, 0
	s_wait_dscnt 0x7
	v_mad_co_u64_u32 v[101:102], null, s17, v103, v[46:47]
	v_mov_b32_e32 v46, v94
	s_delay_alu instid0(VALU_DEP_4) | instskip(SKIP_3) | instid1(VALU_DEP_4)
	v_dual_mov_b32 v84, v23 :: v_dual_mov_b32 v45, v92
	v_mad_co_u64_u32 v[102:103], null, s17, v104, v[24:25]
	v_mov_b32_e32 v23, v96
	v_mad_co_u64_u32 v[21:22], null, s16, v113, 0
	v_mad_co_u64_u32 v[103:104], null, s17, v105, v[45:46]
	s_delay_alu instid0(VALU_DEP_3)
	v_mad_co_u64_u32 v[104:105], null, s17, v111, v[23:24]
	v_mad_co_u64_u32 v[23:24], null, s16, v77, 0
	v_mov_b32_e32 v45, v98
	v_mad_co_u64_u32 v[98:99], null, s17, v106, v[46:47]
	v_mov_b32_e32 v88, v101
	v_lshlrev_b64_e32 v[53:54], 3, v[53:54]
	s_delay_alu instid0(VALU_DEP_4)
	v_mad_co_u64_u32 v[105:106], null, s17, v112, v[45:46]
	v_mad_co_u64_u32 v[45:46], null, s17, v113, v[22:23]
	v_add_co_u32 v99, vcc_lo, v74, v41
	v_lshlrev_b64_e32 v[81:82], 3, v[81:82]
	s_wait_loadcnt 0x9
	v_mul_f32_e32 v22, v25, v20
	s_wait_dscnt 0x5
	v_mul_f32_e32 v20, v51, v20
	s_wait_dscnt 0x4
	v_mul_f32_e32 v46, v18, v70
	v_mul_f32_e32 v18, v34, v18
	v_fma_f32 v22, v19, v51, -v22
	v_fmac_f32_e32 v20, v25, v19
	s_delay_alu instid0(VALU_DEP_4)
	v_fmac_f32_e32 v46, v34, v17
	v_mov_b32_e32 v86, v100
	s_wait_alu 0xfffd
	v_add_co_ci_u32_e32 v100, vcc_lo, v75, v42, vcc_lo
	s_wait_loadcnt 0x7
	v_mul_f32_e32 v19, v39, v16
	v_dual_mul_f32 v16, v79, v16 :: v_dual_mul_f32 v25, v14, v66
	v_mul_f32_e32 v14, v36, v14
	v_add_co_u32 v101, vcc_lo, v74, v53
	s_delay_alu instid0(VALU_DEP_3) | instskip(NEXT) | instid1(VALU_DEP_3)
	v_dual_fmac_f32 v16, v39, v15 :: v_dual_fmac_f32 v25, v36, v13
	v_fma_f32 v36, v13, v66, -v14
	v_mov_b32_e32 v94, v98
	v_mov_b32_e32 v98, v105
	v_fma_f32 v17, v17, v70, -v18
	v_fma_f32 v19, v15, v79, -v19
	s_wait_loadcnt 0x5
	v_mul_f32_e32 v15, v32, v12
	s_wait_loadcnt 0x4
	v_dual_mul_f32 v39, v58, v67 :: v_dual_mov_b32 v96, v104
	v_mul_f32_e32 v58, v37, v58
	v_mad_co_u64_u32 v[41:42], null, s16, v78, 0
	s_delay_alu instid0(VALU_DEP_3)
	v_dual_fmac_f32 v39, v37, v57 :: v_dual_mul_f32 v34, v60, v68
	v_sub_f32_e32 v22, v69, v22
	v_lshlrev_b64_e32 v[83:84], 3, v[83:84]
	v_lshlrev_b64_e32 v[87:88], 3, v[87:88]
	;; [unrolled: 1-line block ×3, first 2 shown]
	s_wait_loadcnt 0x2
	v_dual_mul_f32 v37, v56, v50 :: v_dual_mul_f32 v56, v30, v56
	s_delay_alu instid0(VALU_DEP_1)
	v_fmac_f32_e32 v37, v30, v55
	v_fmac_f32_e32 v34, v38, v59
	v_mov_b32_e32 v90, v102
	s_wait_alu 0xfffd
	v_add_co_ci_u32_e32 v102, vcc_lo, v75, v54, vcc_lo
	v_lshlrev_b64_e32 v[53:54], 3, v[97:98]
	v_mul_f32_e32 v97, v62, v80
	v_fma_f32 v30, v55, v50, -v56
	s_wait_loadcnt 0x0
	v_mul_f32_e32 v50, v44, v49
	v_mul_f32_e32 v62, v40, v62
	;; [unrolled: 1-line block ×3, first 2 shown]
	v_dual_fmac_f32 v97, v40, v61 :: v_dual_mul_f32 v40, v38, v60
	s_delay_alu instid0(VALU_DEP_4) | instskip(SKIP_1) | instid1(VALU_DEP_4)
	v_fmac_f32_e32 v50, v29, v43
	v_mul_f32_e32 v38, v10, v65
	v_dual_mul_f32 v10, v35, v10 :: v_dual_fmac_f32 v55, v26, v3
	s_delay_alu instid0(VALU_DEP_4) | instskip(SKIP_1) | instid1(VALU_DEP_4)
	v_fma_f32 v14, v59, v68, -v40
	v_mul_f32_e32 v40, v64, v12
	v_dual_fmac_f32 v38, v35, v9 :: v_dual_mul_f32 v35, v6, v48
	v_fma_f32 v18, v61, v80, -v62
	s_delay_alu instid0(VALU_DEP_3) | instskip(SKIP_2) | instid1(VALU_DEP_4)
	v_dual_sub_f32 v51, v46, v97 :: v_dual_fmac_f32 v40, v32, v11
	v_fma_f32 v32, v9, v65, -v10
	v_fma_f32 v10, v57, v67, -v58
	v_dual_sub_f32 v18, v17, v18 :: v_dual_mul_f32 v57, v63, v8
	v_fma_f32 v60, v11, v64, -v15
	v_mul_f32_e32 v11, v31, v8
	v_sub_f32_e32 v39, v38, v39
	v_dual_fmac_f32 v35, v28, v5 :: v_dual_sub_f32 v20, v33, v20
	v_fmac_f32_e32 v57, v31, v7
	v_mul_f32_e32 v31, v26, v4
	v_fma_f32 v17, v17, 2.0, -v18
	s_delay_alu instid0(VALU_DEP_4) | instskip(SKIP_1) | instid1(VALU_DEP_4)
	v_sub_f32_e32 v37, v35, v37
	v_dual_mov_b32 v92, v103 :: v_dual_sub_f32 v13, v22, v51
	v_fma_f32 v31, v3, v52, -v31
	v_add_f32_e32 v12, v20, v18
	v_fma_f32 v18, v33, 2.0, -v20
	v_fma_f32 v33, v46, 2.0, -v51
	s_wait_dscnt 0x3
	v_dual_sub_f32 v46, v107, v19 :: v_dual_sub_f32 v19, v25, v34
	v_sub_f32_e32 v34, v76, v16
	v_sub_f32_e32 v51, v36, v14
	v_mul_f32_e32 v6, v28, v6
	v_sub_f32_e32 v16, v18, v33
	v_fma_f32 v25, v25, 2.0, -v19
	v_fma_f32 v33, v76, 2.0, -v34
	;; [unrolled: 1-line block ×5, first 2 shown]
	s_wait_dscnt 0x2
	v_sub_f32_e32 v36, v108, v60
	v_fma_f32 v28, v5, v48, -v6
	v_mul_f32_e32 v48, v2, v47
	v_mul_f32_e32 v2, v27, v2
	v_sub_f32_e32 v6, v33, v25
	v_dual_sub_f32 v17, v59, v17 :: v_dual_add_f32 v8, v34, v51
	v_dual_sub_f32 v40, v73, v40 :: v_dual_sub_f32 v51, v32, v10
	v_fma_f32 v58, v7, v63, -v11
	v_dual_mul_f32 v44, v29, v44 :: v_dual_sub_f32 v11, v36, v39
	v_fmac_f32_e32 v48, v27, v1
	v_fma_f32 v3, v1, v47, -v2
	v_fma_f32 v1, v33, 2.0, -v6
	s_wait_dscnt 0x0
	v_sub_f32_e32 v33, v110, v31
	v_fma_f32 v14, v20, 2.0, -v12
	v_fma_f32 v20, v107, 2.0, -v46
	v_add_co_u32 v81, vcc_lo, v74, v81
	s_wait_alu 0xfffd
	v_add_co_ci_u32_e32 v82, vcc_lo, v75, v82, vcc_lo
	v_sub_f32_e32 v9, v46, v19
	v_fma_f32 v19, v59, 2.0, -v17
	v_fma_f32 v18, v18, 2.0, -v16
	;; [unrolled: 1-line block ×3, first 2 shown]
	v_sub_f32_e32 v7, v20, v22
	v_fma_f32 v22, v108, 2.0, -v36
	v_fma_f32 v25, v32, 2.0, -v51
	;; [unrolled: 1-line block ×4, first 2 shown]
	v_sub_f32_e32 v38, v109, v58
	v_fma_f32 v26, v43, v49, -v44
	v_lshlrev_b64_e32 v[85:86], 3, v[85:86]
	v_add_co_u32 v83, vcc_lo, v74, v83
	s_wait_alu 0xfffd
	v_add_co_ci_u32_e32 v84, vcc_lo, v75, v84, vcc_lo
	s_clause 0x3
	global_store_b64 v[99:100], v[18:19], off
	global_store_b64 v[101:102], v[14:15], off
	;; [unrolled: 1-line block ×4, first 2 shown]
	v_dual_sub_f32 v15, v22, v25 :: v_dual_sub_f32 v14, v32, v34
	v_sub_f32_e32 v17, v38, v37
	v_fma_f32 v27, v35, 2.0, -v37
	v_sub_f32_e32 v29, v48, v50
	v_sub_f32_e32 v34, v3, v26
	;; [unrolled: 1-line block ×3, first 2 shown]
	v_lshlrev_b64_e32 v[89:90], 3, v[89:90]
	v_add_co_u32 v85, vcc_lo, v74, v85
	s_wait_alu 0xfffd
	v_add_co_ci_u32_e32 v86, vcc_lo, v75, v86, vcc_lo
	v_add_f32_e32 v10, v40, v51
	v_sub_f32_e32 v39, v72, v57
	v_sub_f32_e32 v30, v28, v30
	v_lshlrev_b64_e32 v[91:92], 3, v[91:92]
	v_add_co_u32 v87, vcc_lo, v74, v87
	v_fma_f32 v19, v22, 2.0, -v15
	v_fma_f32 v22, v110, 2.0, -v33
	;; [unrolled: 1-line block ×5, first 2 shown]
	s_wait_alu 0xfffd
	v_add_co_ci_u32_e32 v88, vcc_lo, v75, v88, vcc_lo
	v_lshlrev_b64_e32 v[93:94], 3, v[93:94]
	v_add_co_u32 v89, vcc_lo, v74, v89
	v_fma_f32 v2, v20, 2.0, -v7
	v_fma_f32 v12, v40, 2.0, -v10
	;; [unrolled: 1-line block ×5, first 2 shown]
	s_wait_alu 0xfffd
	v_add_co_ci_u32_e32 v90, vcc_lo, v75, v90, vcc_lo
	v_fma_f32 v18, v32, 2.0, -v14
	v_sub_f32_e32 v32, v22, v3
	v_sub_f32_e32 v31, v35, v31
	v_add_co_u32 v91, vcc_lo, v74, v91
	v_add_f32_e32 v16, v39, v30
	v_sub_f32_e32 v30, v33, v29
	v_add_f32_e32 v29, v37, v34
	s_wait_alu 0xfffd
	v_add_co_ci_u32_e32 v92, vcc_lo, v75, v92, vcc_lo
	v_add_co_u32 v93, vcc_lo, v74, v93
	v_sub_f32_e32 v28, v20, v25
	v_sub_f32_e32 v27, v40, v27
	v_fma_f32 v13, v36, 2.0, -v11
	v_fma_f32 v36, v22, 2.0, -v32
	v_fma_f32 v35, v35, 2.0, -v31
	s_wait_alu 0xfffd
	v_add_co_ci_u32_e32 v94, vcc_lo, v75, v94, vcc_lo
	v_fma_f32 v34, v33, 2.0, -v30
	v_fma_f32 v33, v37, 2.0, -v29
	v_add_co_u32 v95, vcc_lo, v74, v95
	s_wait_alu 0xfffd
	v_add_co_ci_u32_e32 v96, vcc_lo, v75, v96, vcc_lo
	v_fma_f32 v26, v38, 2.0, -v17
	v_fma_f32 v25, v39, 2.0, -v16
	v_fma_f32 v38, v20, 2.0, -v28
	v_fma_f32 v37, v40, 2.0, -v27
	s_clause 0x5
	global_store_b64 v[85:86], v[35:36], off
	global_store_b64 v[89:90], v[33:34], off
	;; [unrolled: 1-line block ×6, first 2 shown]
	v_add_co_u32 v25, vcc_lo, v74, v53
	v_mov_b32_e32 v3, v42
	s_wait_alu 0xfffd
	v_add_co_ci_u32_e32 v26, vcc_lo, v75, v54, vcc_lo
	s_delay_alu instid0(VALU_DEP_3) | instskip(NEXT) | instid1(VALU_DEP_3)
	v_mad_co_u64_u32 v[29:30], null, s17, v77, v[24:25]
	v_mad_co_u64_u32 v[30:31], null, s17, v78, v[3:4]
	v_dual_mov_b32 v22, v45 :: v_dual_add_nc_u32 v3, 0x500, v77
	v_add_nc_u32_e32 v31, 0x200, v0
	global_store_b64 v[25:26], v[27:28], off
	v_mov_b32_e32 v24, v29
	v_lshlrev_b64_e32 v[20:21], 3, v[21:22]
	v_mad_co_u64_u32 v[25:26], null, s16, v3, 0
	v_mul_hi_u32 v22, 0xcccccccd, v31
	v_mov_b32_e32 v42, v30
	v_fma_f32 v5, v46, 2.0, -v9
	v_add_co_u32 v20, vcc_lo, v74, v20
	s_wait_alu 0xfffd
	v_add_co_ci_u32_e32 v21, vcc_lo, v75, v21, vcc_lo
	v_mov_b32_e32 v0, v26
	v_lshrrev_b32_e32 v32, 9, v22
	v_lshlrev_b64_e32 v[22:23], 3, v[23:24]
	v_lshlrev_b64_e32 v[26:27], 3, v[41:42]
	v_add_nc_u32_e32 v24, 0x780, v77
	v_mad_co_u64_u32 v[28:29], null, s17, v3, v[0:1]
	v_mul_u32_u24_e32 v0, 0x280, v32
	v_add_co_u32 v22, vcc_lo, v74, v22
	s_wait_alu 0xfffd
	v_add_co_ci_u32_e32 v23, vcc_lo, v75, v23, vcc_lo
	s_delay_alu instid0(VALU_DEP_3)
	v_sub_nc_u32_e32 v0, v31, v0
	v_add_co_u32 v29, vcc_lo, v74, v26
	v_mov_b32_e32 v26, v28
	s_wait_alu 0xfffd
	v_add_co_ci_u32_e32 v30, vcc_lo, v75, v27, vcc_lo
	v_mad_u32_u24 v31, 0xa00, v32, v0
	v_mad_co_u64_u32 v[27:28], null, s16, v24, 0
	s_clause 0x2
	global_store_b64 v[20:21], v[16:17], off
	global_store_b64 v[22:23], v[18:19], off
	;; [unrolled: 1-line block ×3, first 2 shown]
	v_lshlrev_b64_e32 v[12:13], 3, v[25:26]
	v_add_nc_u32_e32 v25, 0x280, v31
	v_mad_co_u64_u32 v[16:17], null, s16, v31, 0
	v_dual_mov_b32 v0, v28 :: v_dual_add_nc_u32 v29, 0x500, v31
	s_delay_alu instid0(VALU_DEP_3) | instskip(SKIP_1) | instid1(VALU_DEP_4)
	v_mad_co_u64_u32 v[18:19], null, s16, v25, 0
	v_add_co_u32 v12, vcc_lo, v74, v12
	v_mov_b32_e32 v3, v17
	s_delay_alu instid0(VALU_DEP_4) | instskip(SKIP_2) | instid1(VALU_DEP_3)
	v_mad_co_u64_u32 v[20:21], null, s17, v24, v[0:1]
	s_wait_alu 0xfffd
	v_add_co_ci_u32_e32 v13, vcc_lo, v75, v13, vcc_lo
	v_mad_co_u64_u32 v[21:22], null, s17, v31, v[3:4]
	v_mov_b32_e32 v0, v19
	v_mad_co_u64_u32 v[22:23], null, s16, v29, 0
	v_dual_mov_b32 v28, v20 :: v_dual_add_nc_u32 v3, 0x780, v31
	s_delay_alu instid0(VALU_DEP_3)
	v_mad_co_u64_u32 v[24:25], null, s17, v25, v[0:1]
	global_store_b64 v[12:13], v[14:15], off
	v_mad_co_u64_u32 v[25:26], null, s16, v3, 0
	v_dual_mov_b32 v0, v23 :: v_dual_mov_b32 v17, v21
	v_lshlrev_b64_e32 v[12:13], 3, v[27:28]
	v_mov_b32_e32 v19, v24
	s_delay_alu instid0(VALU_DEP_3) | instskip(SKIP_4) | instid1(VALU_DEP_4)
	v_mad_co_u64_u32 v[14:15], null, s17, v29, v[0:1]
	v_mov_b32_e32 v0, v26
	v_lshlrev_b64_e32 v[15:16], 3, v[16:17]
	v_add_co_u32 v12, vcc_lo, v74, v12
	v_lshlrev_b64_e32 v[17:18], 3, v[18:19]
	v_mad_co_u64_u32 v[20:21], null, s17, v3, v[0:1]
	v_mov_b32_e32 v23, v14
	s_wait_alu 0xfffd
	v_add_co_ci_u32_e32 v13, vcc_lo, v75, v13, vcc_lo
	v_add_co_u32 v14, vcc_lo, v74, v15
	s_wait_alu 0xfffd
	v_add_co_ci_u32_e32 v15, vcc_lo, v75, v16, vcc_lo
	v_mov_b32_e32 v26, v20
	v_lshlrev_b64_e32 v[21:22], 3, v[22:23]
	v_add_co_u32 v16, vcc_lo, v74, v17
	s_wait_alu 0xfffd
	v_add_co_ci_u32_e32 v17, vcc_lo, v75, v18, vcc_lo
	v_lshlrev_b64_e32 v[18:19], 3, v[25:26]
	s_delay_alu instid0(VALU_DEP_4) | instskip(SKIP_2) | instid1(VALU_DEP_3)
	v_add_co_u32 v20, vcc_lo, v74, v21
	s_wait_alu 0xfffd
	v_add_co_ci_u32_e32 v21, vcc_lo, v75, v22, vcc_lo
	v_add_co_u32 v18, vcc_lo, v74, v18
	s_wait_alu 0xfffd
	v_add_co_ci_u32_e32 v19, vcc_lo, v75, v19, vcc_lo
	s_clause 0x4
	global_store_b64 v[12:13], v[10:11], off
	global_store_b64 v[14:15], v[1:2], off
	global_store_b64 v[16:17], v[4:5], off
	global_store_b64 v[20:21], v[6:7], off
	global_store_b64 v[18:19], v[8:9], off
.LBB0_15:
	s_nop 0
	s_sendmsg sendmsg(MSG_DEALLOC_VGPRS)
	s_endpgm
	.section	.rodata,"a",@progbits
	.p2align	6, 0x0
	.amdhsa_kernel fft_rtc_back_len2560_factors_4_4_4_10_4_wgs_128_tpt_128_halfLds_sp_op_CI_CI_sbrr_dirReg
		.amdhsa_group_segment_fixed_size 0
		.amdhsa_private_segment_fixed_size 0
		.amdhsa_kernarg_size 104
		.amdhsa_user_sgpr_count 2
		.amdhsa_user_sgpr_dispatch_ptr 0
		.amdhsa_user_sgpr_queue_ptr 0
		.amdhsa_user_sgpr_kernarg_segment_ptr 1
		.amdhsa_user_sgpr_dispatch_id 0
		.amdhsa_user_sgpr_private_segment_size 0
		.amdhsa_wavefront_size32 1
		.amdhsa_uses_dynamic_stack 0
		.amdhsa_enable_private_segment 0
		.amdhsa_system_sgpr_workgroup_id_x 1
		.amdhsa_system_sgpr_workgroup_id_y 0
		.amdhsa_system_sgpr_workgroup_id_z 0
		.amdhsa_system_sgpr_workgroup_info 0
		.amdhsa_system_vgpr_workitem_id 0
		.amdhsa_next_free_vgpr 114
		.amdhsa_next_free_sgpr 43
		.amdhsa_reserve_vcc 1
		.amdhsa_float_round_mode_32 0
		.amdhsa_float_round_mode_16_64 0
		.amdhsa_float_denorm_mode_32 3
		.amdhsa_float_denorm_mode_16_64 3
		.amdhsa_fp16_overflow 0
		.amdhsa_workgroup_processor_mode 1
		.amdhsa_memory_ordered 1
		.amdhsa_forward_progress 0
		.amdhsa_round_robin_scheduling 0
		.amdhsa_exception_fp_ieee_invalid_op 0
		.amdhsa_exception_fp_denorm_src 0
		.amdhsa_exception_fp_ieee_div_zero 0
		.amdhsa_exception_fp_ieee_overflow 0
		.amdhsa_exception_fp_ieee_underflow 0
		.amdhsa_exception_fp_ieee_inexact 0
		.amdhsa_exception_int_div_zero 0
	.end_amdhsa_kernel
	.text
.Lfunc_end0:
	.size	fft_rtc_back_len2560_factors_4_4_4_10_4_wgs_128_tpt_128_halfLds_sp_op_CI_CI_sbrr_dirReg, .Lfunc_end0-fft_rtc_back_len2560_factors_4_4_4_10_4_wgs_128_tpt_128_halfLds_sp_op_CI_CI_sbrr_dirReg
                                        ; -- End function
	.section	.AMDGPU.csdata,"",@progbits
; Kernel info:
; codeLenInByte = 12324
; NumSgprs: 45
; NumVgprs: 114
; ScratchSize: 0
; MemoryBound: 0
; FloatMode: 240
; IeeeMode: 1
; LDSByteSize: 0 bytes/workgroup (compile time only)
; SGPRBlocks: 5
; VGPRBlocks: 14
; NumSGPRsForWavesPerEU: 45
; NumVGPRsForWavesPerEU: 114
; Occupancy: 12
; WaveLimiterHint : 1
; COMPUTE_PGM_RSRC2:SCRATCH_EN: 0
; COMPUTE_PGM_RSRC2:USER_SGPR: 2
; COMPUTE_PGM_RSRC2:TRAP_HANDLER: 0
; COMPUTE_PGM_RSRC2:TGID_X_EN: 1
; COMPUTE_PGM_RSRC2:TGID_Y_EN: 0
; COMPUTE_PGM_RSRC2:TGID_Z_EN: 0
; COMPUTE_PGM_RSRC2:TIDIG_COMP_CNT: 0
	.text
	.p2alignl 7, 3214868480
	.fill 96, 4, 3214868480
	.type	__hip_cuid_6e372dcb3f4ec27c,@object ; @__hip_cuid_6e372dcb3f4ec27c
	.section	.bss,"aw",@nobits
	.globl	__hip_cuid_6e372dcb3f4ec27c
__hip_cuid_6e372dcb3f4ec27c:
	.byte	0                               ; 0x0
	.size	__hip_cuid_6e372dcb3f4ec27c, 1

	.ident	"AMD clang version 19.0.0git (https://github.com/RadeonOpenCompute/llvm-project roc-6.4.0 25133 c7fe45cf4b819c5991fe208aaa96edf142730f1d)"
	.section	".note.GNU-stack","",@progbits
	.addrsig
	.addrsig_sym __hip_cuid_6e372dcb3f4ec27c
	.amdgpu_metadata
---
amdhsa.kernels:
  - .args:
      - .actual_access:  read_only
        .address_space:  global
        .offset:         0
        .size:           8
        .value_kind:     global_buffer
      - .offset:         8
        .size:           8
        .value_kind:     by_value
      - .actual_access:  read_only
        .address_space:  global
        .offset:         16
        .size:           8
        .value_kind:     global_buffer
      - .actual_access:  read_only
        .address_space:  global
        .offset:         24
        .size:           8
        .value_kind:     global_buffer
      - .actual_access:  read_only
        .address_space:  global
        .offset:         32
        .size:           8
        .value_kind:     global_buffer
      - .offset:         40
        .size:           8
        .value_kind:     by_value
      - .actual_access:  read_only
        .address_space:  global
        .offset:         48
        .size:           8
        .value_kind:     global_buffer
      - .actual_access:  read_only
        .address_space:  global
        .offset:         56
        .size:           8
        .value_kind:     global_buffer
      - .offset:         64
        .size:           4
        .value_kind:     by_value
      - .actual_access:  read_only
        .address_space:  global
        .offset:         72
        .size:           8
        .value_kind:     global_buffer
      - .actual_access:  read_only
        .address_space:  global
        .offset:         80
        .size:           8
        .value_kind:     global_buffer
      - .actual_access:  read_only
        .address_space:  global
        .offset:         88
        .size:           8
        .value_kind:     global_buffer
      - .actual_access:  write_only
        .address_space:  global
        .offset:         96
        .size:           8
        .value_kind:     global_buffer
    .group_segment_fixed_size: 0
    .kernarg_segment_align: 8
    .kernarg_segment_size: 104
    .language:       OpenCL C
    .language_version:
      - 2
      - 0
    .max_flat_workgroup_size: 128
    .name:           fft_rtc_back_len2560_factors_4_4_4_10_4_wgs_128_tpt_128_halfLds_sp_op_CI_CI_sbrr_dirReg
    .private_segment_fixed_size: 0
    .sgpr_count:     45
    .sgpr_spill_count: 0
    .symbol:         fft_rtc_back_len2560_factors_4_4_4_10_4_wgs_128_tpt_128_halfLds_sp_op_CI_CI_sbrr_dirReg.kd
    .uniform_work_group_size: 1
    .uses_dynamic_stack: false
    .vgpr_count:     114
    .vgpr_spill_count: 0
    .wavefront_size: 32
    .workgroup_processor_mode: 1
amdhsa.target:   amdgcn-amd-amdhsa--gfx1201
amdhsa.version:
  - 1
  - 2
...

	.end_amdgpu_metadata
